;; amdgpu-corpus repo=ROCm/rocFFT kind=compiled arch=gfx1201 opt=O3
	.text
	.amdgcn_target "amdgcn-amd-amdhsa--gfx1201"
	.amdhsa_code_object_version 6
	.protected	bluestein_single_back_len3645_dim1_half_op_CI_CI ; -- Begin function bluestein_single_back_len3645_dim1_half_op_CI_CI
	.globl	bluestein_single_back_len3645_dim1_half_op_CI_CI
	.p2align	8
	.type	bluestein_single_back_len3645_dim1_half_op_CI_CI,@function
bluestein_single_back_len3645_dim1_half_op_CI_CI: ; @bluestein_single_back_len3645_dim1_half_op_CI_CI
; %bb.0:
	s_load_b128 s[12:15], s[0:1], 0x28
	v_mul_u32_u24_e32 v1, 0x10e, v0
	s_mov_b32 s2, exec_lo
	v_mov_b32_e32 v2, 0
	s_delay_alu instid0(VALU_DEP_2) | instskip(NEXT) | instid1(VALU_DEP_1)
	v_lshrrev_b32_e32 v3, 16, v1
	v_add_nc_u32_e32 v1, ttmp9, v3
	s_wait_kmcnt 0x0
	s_delay_alu instid0(VALU_DEP_1)
	v_cmpx_gt_u64_e64 s[12:13], v[1:2]
	s_cbranch_execz .LBB0_2
; %bb.1:
	s_clause 0x1
	s_load_b128 s[8:11], s[0:1], 0x18
	s_load_b128 s[4:7], s[0:1], 0x0
	v_mul_lo_u16 v2, 0xf3, v3
	s_load_b64 s[0:1], s[0:1], 0x38
	s_mov_b32 s28, 0xdc4fce8b
	s_mov_b32 s29, 0x3f31fc10
	s_delay_alu instid0(VALU_DEP_1) | instskip(NEXT) | instid1(VALU_DEP_1)
	v_sub_nc_u16 v14, v0, v2
	v_and_b32_e32 v0, 0xffff, v14
	s_wait_kmcnt 0x0
	s_load_b128 s[16:19], s[8:9], 0x0
	s_wait_kmcnt 0x0
	v_mad_co_u64_u32 v[2:3], null, s18, v1, 0
	v_mad_co_u64_u32 v[4:5], null, s16, v0, 0
	s_mul_u64 s[2:3], s[16:17], 0xb64
	s_mul_i32 s8, s17, 0xffffd63c
	s_delay_alu instid0(SALU_CYCLE_1) | instskip(NEXT) | instid1(VALU_DEP_1)
	s_sub_co_i32 s8, s8, s16
	v_mad_co_u64_u32 v[6:7], null, s19, v1, v[3:4]
	s_delay_alu instid0(VALU_DEP_1) | instskip(NEXT) | instid1(VALU_DEP_3)
	v_mov_b32_e32 v3, v6
	v_mad_co_u64_u32 v[7:8], null, s17, v0, v[5:6]
	v_lshlrev_b32_e32 v62, 2, v0
	v_add_co_u32 v18, null, 0x1e6, v0
	s_delay_alu instid0(VALU_DEP_4)
	v_lshlrev_b64_e32 v[2:3], 2, v[2:3]
	v_add_co_u32 v19, null, 0x2d9, v0
	v_mov_b32_e32 v5, v7
	s_clause 0x4
	global_load_b32 v71, v62, s[4:5]
	global_load_b32 v70, v62, s[4:5] offset:972
	global_load_b32 v72, v62, s[4:5] offset:6804
	;; [unrolled: 1-line block ×4, first 2 shown]
	v_add_co_u32 v2, vcc_lo, s14, v2
	v_lshlrev_b64_e32 v[4:5], 2, v[4:5]
	v_add_co_ci_u32_e32 v3, vcc_lo, s15, v3, vcc_lo
	s_clause 0x9
	global_load_b32 v74, v62, s[4:5] offset:3888
	global_load_b32 v75, v62, s[4:5] offset:2916
	;; [unrolled: 1-line block ×10, first 2 shown]
	v_add_co_u32 v2, vcc_lo, v2, v4
	s_wait_alu 0xfffd
	v_add_co_ci_u32_e32 v3, vcc_lo, v3, v5, vcc_lo
	v_mul_u32_u24_e32 v26, 5, v18
	s_delay_alu instid0(VALU_DEP_3) | instskip(SKIP_1) | instid1(VALU_DEP_3)
	v_add_co_u32 v4, vcc_lo, v2, s2
	s_wait_alu 0xfffd
	v_add_co_ci_u32_e32 v5, vcc_lo, s3, v3, vcc_lo
	global_load_b32 v22, v[2:3], off
	v_lshlrev_b32_e32 v184, 2, v26
	v_add_nc_u32_e32 v97, 0x780, v62
	global_load_b32 v21, v[4:5], off
	v_add_co_u32 v2, vcc_lo, v4, s2
	s_wait_alu 0xfffd
	v_add_co_ci_u32_e32 v3, vcc_lo, s3, v5, vcc_lo
	v_add_nc_u32_e32 v98, 0x1e40, v62
	s_delay_alu instid0(VALU_DEP_3) | instskip(SKIP_1) | instid1(VALU_DEP_3)
	v_add_co_u32 v4, vcc_lo, v2, s2
	s_wait_alu 0xfffd
	v_add_co_ci_u32_e32 v5, vcc_lo, s3, v3, vcc_lo
	global_load_b32 v13, v[2:3], off
	v_add_co_u32 v6, vcc_lo, v4, s2
	s_wait_alu 0xfffd
	v_add_co_ci_u32_e32 v7, vcc_lo, s3, v5, vcc_lo
	s_clause 0x1
	global_load_b32 v17, v[4:5], off
	global_load_b32 v20, v[6:7], off
	v_mad_co_u64_u32 v[2:3], null, 0xffffd63c, s16, v[6:7]
	v_add_nc_u32_e32 v94, 0xf00, v62
	v_add_nc_u32_e32 v186, 0x1a80, v62
	;; [unrolled: 1-line block ×7, first 2 shown]
	v_add_co_u32 v4, vcc_lo, v2, s2
	v_and_b32_e32 v100, 0xffff, v19
	s_wait_alu 0xfffd
	s_delay_alu instid0(VALU_DEP_3)
	v_add_co_ci_u32_e32 v5, vcc_lo, s3, v3, vcc_lo
	global_load_b32 v12, v[2:3], off
	v_add_co_u32 v2, vcc_lo, v4, s2
	s_wait_alu 0xfffd
	v_add_co_ci_u32_e32 v3, vcc_lo, s3, v5, vcc_lo
	global_load_b32 v11, v[4:5], off
	v_add_co_u32 v4, vcc_lo, v2, s2
	s_wait_alu 0xfffd
	;; [unrolled: 4-line block ×3, first 2 shown]
	v_add_co_ci_u32_e32 v7, vcc_lo, s3, v5, vcc_lo
	global_load_b32 v9, v[4:5], off
	global_load_b32 v8, v[6:7], off
	v_mad_co_u64_u32 v[2:3], null, 0xffffd63c, s16, v[6:7]
	v_mul_u32_u24_e32 v29, 0xcccd, v100
	s_delay_alu instid0(VALU_DEP_1) | instskip(NEXT) | instid1(VALU_DEP_3)
	v_lshrrev_b32_e32 v29, 18, v29
	v_add_nc_u32_e32 v3, s8, v3
	s_delay_alu instid0(VALU_DEP_4) | instskip(NEXT) | instid1(VALU_DEP_3)
	v_add_co_u32 v4, vcc_lo, v2, s2
	v_mul_lo_u16 v34, v29, 5
	s_wait_alu 0xfffd
	s_delay_alu instid0(VALU_DEP_3)
	v_add_co_ci_u32_e32 v5, vcc_lo, s3, v3, vcc_lo
	global_load_b32 v7, v[2:3], off
	v_add_co_u32 v2, vcc_lo, v4, s2
	s_wait_alu 0xfffd
	v_add_co_ci_u32_e32 v3, vcc_lo, s3, v5, vcc_lo
	global_load_b32 v6, v[4:5], off
	v_add_co_u32 v4, vcc_lo, v2, s2
	s_wait_alu 0xfffd
	;; [unrolled: 4-line block ×3, first 2 shown]
	v_add_co_ci_u32_e32 v16, vcc_lo, s3, v5, vcc_lo
	global_load_b32 v5, v[4:5], off
	global_load_b32 v4, v[15:16], off
	v_mul_lo_u16 v16, v14, 5
	s_load_b128 s[24:27], s[10:11], 0x0
	v_add_co_u32 v15, null, 0x3cc, v0
	v_sub_nc_u16 v34, v19, v34
	s_delay_alu instid0(VALU_DEP_3)
	v_and_b32_e32 v24, 0xffff, v16
	v_add_co_u32 v16, s2, 0xf3, v0
	s_wait_alu 0xf1ff
	v_add_co_ci_u32_e64 v99, null, 0, 0, s2
	v_and_b32_e32 v2, 0xff, v14
	v_and_b32_e32 v101, 0xffff, v15
	v_mul_u32_u24_e32 v25, 5, v16
	v_lshlrev_b32_e32 v183, 2, v24
	v_and_b32_e32 v24, 0xffff, v18
	v_mul_lo_u16 v23, 0xcd, v2
	v_mul_u32_u24_e32 v28, 0xcccd, v101
	v_lshlrev_b32_e32 v185, 2, v25
	v_cmp_gt_u16_e32 vcc_lo, 0x87, v14
	v_mul_u32_u24_e32 v26, 0xcccd, v24
	v_lshrrev_b16 v27, 10, v23
	v_and_b32_e32 v23, 0xffff, v16
	v_lshrrev_b32_e32 v28, 18, v28
	s_delay_alu instid0(VALU_DEP_4) | instskip(NEXT) | instid1(VALU_DEP_3)
	v_lshrrev_b32_e32 v31, 18, v26
	v_mul_u32_u24_e32 v25, 0xcccd, v23
	s_delay_alu instid0(VALU_DEP_3) | instskip(NEXT) | instid1(VALU_DEP_3)
	v_mul_lo_u16 v26, v28, 5
	v_mul_lo_u16 v33, v31, 5
	s_delay_alu instid0(VALU_DEP_3) | instskip(SKIP_1) | instid1(VALU_DEP_4)
	v_lshrrev_b32_e32 v30, 18, v25
	v_mul_lo_u16 v25, v27, 5
	v_sub_nc_u16 v35, v15, v26
	s_delay_alu instid0(VALU_DEP_4) | instskip(NEXT) | instid1(VALU_DEP_4)
	v_sub_nc_u16 v33, v18, v33
	v_mul_lo_u16 v32, v30, 5
	s_delay_alu instid0(VALU_DEP_4) | instskip(NEXT) | instid1(VALU_DEP_2)
	v_sub_nc_u16 v25, v14, v25
	v_sub_nc_u16 v32, v16, v32
	s_delay_alu instid0(VALU_DEP_2) | instskip(SKIP_1) | instid1(VALU_DEP_3)
	v_and_b32_e32 v36, 0xff, v25
	v_lshlrev_b16 v25, 1, v35
	v_lshlrev_b16 v26, 1, v32
	s_wait_loadcnt 0x1b
	v_lshrrev_b32_e32 v86, 16, v72
	v_lshrrev_b32_e32 v93, 16, v71
	s_wait_loadcnt 0x1a
	v_lshrrev_b32_e32 v91, 16, v73
	v_lshrrev_b32_e32 v88, 16, v70
	s_wait_loadcnt 0x19
	v_lshrrev_b32_e32 v81, 16, v66
	s_wait_loadcnt 0x18
	;; [unrolled: 2-line block ×6, first 2 shown]
	v_lshrrev_b32_e32 v90, 16, v77
	v_lshrrev_b32_e32 v84, 16, v69
	;; [unrolled: 1-line block ×3, first 2 shown]
	s_wait_loadcnt 0xf
	v_lshrrev_b32_e32 v80, 16, v65
	v_lshrrev_b32_e32 v79, 16, v64
	;; [unrolled: 1-line block ×3, first 2 shown]
	s_wait_loadcnt 0xe
	v_lshrrev_b32_e32 v37, 16, v22
	v_mul_f16_e32 v38, v93, v22
	s_wait_loadcnt 0xd
	v_lshrrev_b32_e32 v40, 16, v21
	v_mul_f16_e32 v41, v92, v21
	v_mul_f16_e32 v39, v93, v37
	v_fma_f16 v37, v71, v37, -v38
	s_delay_alu instid0(VALU_DEP_2)
	v_fmac_f16_e32 v39, v71, v22
	v_mul_f16_e32 v22, v92, v40
	v_fma_f16 v40, v75, v40, -v41
	s_wait_loadcnt 0xc
	v_lshrrev_b32_e32 v38, 16, v13
	v_mul_f16_e32 v41, v91, v13
	v_pack_b32_f16 v37, v39, v37
	v_fmac_f16_e32 v22, v75, v21
	s_delay_alu instid0(VALU_DEP_4)
	v_mul_f16_e32 v21, v91, v38
	s_wait_loadcnt 0xb
	v_lshrrev_b32_e32 v39, 16, v17
	v_fma_f16 v38, v73, v38, -v41
	s_wait_loadcnt 0xa
	v_lshrrev_b32_e32 v41, 16, v20
	v_mul_f16_e32 v42, v90, v17
	v_pack_b32_f16 v22, v22, v40
	v_mul_f16_e32 v40, v90, v39
	v_mul_f16_e32 v43, v89, v20
	v_mul_f16_e32 v44, v89, v41
	v_fmac_f16_e32 v21, v73, v13
	v_fma_f16 v13, v77, v39, -v42
	v_fmac_f16_e32 v40, v77, v17
	v_fma_f16 v17, v76, v41, -v43
	v_fmac_f16_e32 v44, v76, v20
	v_pack_b32_f16 v21, v21, v38
	s_delay_alu instid0(VALU_DEP_4)
	v_pack_b32_f16 v13, v40, v13
	s_wait_loadcnt 0x9
	v_lshrrev_b32_e32 v20, 16, v12
	v_mul_f16_e32 v38, v88, v12
	v_pack_b32_f16 v17, v44, v17
	ds_store_b32 v62, v22 offset:2916
	ds_store_b32 v62, v21 offset:5832
	;; [unrolled: 1-line block ×4, first 2 shown]
	v_mul_f16_e32 v39, v88, v20
	s_wait_loadcnt 0x8
	v_lshrrev_b32_e32 v40, 16, v11
	v_fma_f16 v20, v70, v20, -v38
	v_mul_f16_e32 v38, v87, v11
	v_fmac_f16_e32 v39, v70, v12
	s_delay_alu instid0(VALU_DEP_4)
	v_mul_f16_e32 v12, v87, v40
	s_wait_loadcnt 0x7
	v_lshrrev_b32_e32 v13, 16, v10
	v_mul_f16_e32 v17, v86, v10
	v_fma_f16 v21, v74, v40, -v38
	v_pack_b32_f16 v20, v39, v20
	v_fmac_f16_e32 v12, v74, v11
	v_mul_f16_e32 v11, v86, v13
	v_fma_f16 v13, v72, v13, -v17
	s_wait_loadcnt 0x6
	v_lshrrev_b32_e32 v17, 16, v9
	v_mul_f16_e32 v22, v84, v9
	ds_store_2addr_b32 v62, v37, v20 offset1:243
	v_pack_b32_f16 v12, v12, v21
	s_wait_loadcnt 0x5
	v_lshrrev_b32_e32 v20, 16, v8
	v_mul_f16_e32 v21, v84, v17
	v_fmac_f16_e32 v11, v72, v10
	v_fma_f16 v17, v69, v17, -v22
	v_mul_f16_e32 v10, v83, v8
	v_mul_f16_e32 v22, v83, v20
	v_fmac_f16_e32 v21, v69, v9
	v_pack_b32_f16 v9, v11, v13
	s_delay_alu instid0(VALU_DEP_4)
	v_fma_f16 v10, v68, v20, -v10
	s_wait_loadcnt 0x4
	v_lshrrev_b32_e32 v11, 16, v7
	v_fmac_f16_e32 v22, v68, v8
	v_pack_b32_f16 v8, v21, v17
	v_mul_f16_e32 v13, v82, v7
	s_wait_loadcnt 0x3
	v_lshrrev_b32_e32 v17, 16, v6
	v_mul_f16_e32 v20, v82, v11
	v_mul_f16_e32 v21, v81, v6
	v_fma_f16 v11, v67, v11, -v13
	v_pack_b32_f16 v10, v22, v10
	v_mul_f16_e32 v13, v81, v17
	v_fmac_f16_e32 v20, v67, v7
	s_wait_loadcnt 0x2
	v_lshrrev_b32_e32 v7, 16, v3
	v_fma_f16 v17, v66, v17, -v21
	v_mul_f16_e32 v21, v80, v3
	v_fmac_f16_e32 v13, v66, v6
	s_wait_loadcnt 0x1
	v_lshrrev_b32_e32 v6, 16, v5
	s_wait_loadcnt 0x0
	v_lshrrev_b32_e32 v37, 16, v4
	v_mul_f16_e32 v22, v80, v7
	v_fma_f16 v7, v65, v7, -v21
	v_mul_f16_e32 v21, v79, v5
	v_mul_f16_e32 v38, v79, v6
	;; [unrolled: 1-line block ×4, first 2 shown]
	v_fmac_f16_e32 v22, v65, v3
	v_fma_f16 v3, v64, v6, -v21
	v_fmac_f16_e32 v38, v64, v5
	v_fma_f16 v5, v63, v37, -v39
	v_fmac_f16_e32 v40, v63, v4
	v_pack_b32_f16 v4, v20, v11
	v_pack_b32_f16 v6, v13, v17
	;; [unrolled: 1-line block ×5, first 2 shown]
	ds_store_b32 v62, v4 offset:1944
	ds_store_2addr_b32 v94, v12, v6 offset0:12 offset1:255
	ds_store_2addr_b32 v186, v9, v7 offset0:5 offset1:248
	;; [unrolled: 1-line block ×4, first 2 shown]
	global_wb scope:SCOPE_SE
	s_wait_dscnt 0x0
	s_wait_kmcnt 0x0
	s_barrier_signal -1
	s_barrier_wait -1
	global_inv scope:SCOPE_SE
	ds_load_2addr_b32 v[3:4], v62 offset1:243
	ds_load_2addr_b32 v[5:6], v94 offset0:12 offset1:255
	ds_load_2addr_b32 v[7:8], v96 offset0:2 offset1:245
	ds_load_2addr_b32 v[9:10], v85 offset0:6 offset1:249
	ds_load_2addr_b32 v[11:12], v95 offset0:4 offset1:247
	v_and_b32_e32 v37, 0xffff, v25
	v_and_b32_e32 v38, 0xffff, v26
	ds_load_2addr_b32 v[20:21], v97 offset0:6 offset1:249
	ds_load_2addr_b32 v[25:26], v98 offset0:8 offset1:251
	ds_load_b32 v39, v62 offset:13608
	v_lshlrev_b16 v13, 1, v33
	v_lshlrev_b16 v22, 1, v34
	v_lshlrev_b32_e32 v37, 2, v37
	v_lshlrev_b32_e32 v17, 3, v36
	;; [unrolled: 1-line block ×3, first 2 shown]
	v_and_b32_e32 v13, 0xffff, v13
	v_and_b32_e32 v22, 0xffff, v22
	global_wb scope:SCOPE_SE
	s_wait_dscnt 0x0
	s_barrier_signal -1
	s_barrier_wait -1
	v_lshlrev_b32_e32 v13, 2, v13
	v_pk_add_f16 v40, v4, v5
	v_pk_add_f16 v44, v5, v8 neg_lo:[0,1] neg_hi:[0,1]
	v_pk_add_f16 v41, v8, v9
	v_pk_add_f16 v42, v5, v12 neg_lo:[0,1] neg_hi:[0,1]
	v_pk_add_f16 v43, v8, v9 neg_lo:[0,1] neg_hi:[0,1]
	;; [unrolled: 1-line block ×3, first 2 shown]
	v_pk_add_f16 v46, v5, v12
	v_pk_add_f16 v48, v20, v6
	;; [unrolled: 1-line block ×4, first 2 shown]
	v_pk_add_f16 v51, v21, v11 neg_lo:[0,1] neg_hi:[0,1]
	v_pk_add_f16 v52, v7, v26 neg_lo:[0,1] neg_hi:[0,1]
	v_pk_add_f16 v55, v21, v11
	v_pk_add_f16 v5, v8, v5 neg_lo:[0,1] neg_hi:[0,1]
	v_pk_add_f16 v47, v9, v12 neg_lo:[0,1] neg_hi:[0,1]
	;; [unrolled: 1-line block ×6, first 2 shown]
	v_pk_add_f16 v57, v25, v10
	v_pk_add_f16 v58, v6, v39 neg_lo:[0,1] neg_hi:[0,1]
	v_pk_add_f16 v59, v25, v10 neg_lo:[0,1] neg_hi:[0,1]
	;; [unrolled: 1-line block ×3, first 2 shown]
	v_pk_add_f16 v102, v6, v39
	v_pk_add_f16 v6, v25, v6 neg_lo:[0,1] neg_hi:[0,1]
	v_pk_add_f16 v8, v40, v8
	v_pk_add_f16 v7, v49, v7
	v_pk_fma_f16 v40, v41, 0.5, v4 op_sel_hi:[1,0,1] neg_lo:[1,0,0] neg_hi:[1,0,0]
	v_pk_fma_f16 v4, v46, 0.5, v4 op_sel_hi:[1,0,1] neg_lo:[1,0,0] neg_hi:[1,0,0]
	;; [unrolled: 1-line block ×3, first 2 shown]
	v_pk_add_f16 v44, v44, v45
	v_pk_mul_f16 v45, 0x3b9c, v42 op_sel_hi:[0,1]
	v_pk_mul_f16 v46, 0x38b4, v43 op_sel_hi:[0,1]
	;; [unrolled: 1-line block ×3, first 2 shown]
	v_pk_add_f16 v25, v48, v25
	v_pk_mul_f16 v48, 0x3b9c, v51 op_sel_hi:[0,1]
	v_pk_fma_f16 v3, v55, 0.5, v3 op_sel_hi:[1,0,1] neg_lo:[1,0,0] neg_hi:[1,0,0]
	v_pk_mul_f16 v50, 0x3b9c, v52 op_sel_hi:[0,1]
	v_pk_add_f16 v61, v39, v10 neg_lo:[0,1] neg_hi:[0,1]
	v_pk_add_f16 v103, v10, v39 neg_lo:[0,1] neg_hi:[0,1]
	v_pk_add_f16 v5, v5, v47
	v_pk_mul_f16 v42, 0x38b4, v42 op_sel_hi:[0,1]
	v_pk_add_f16 v47, v53, v54
	v_pk_add_f16 v21, v21, v56
	v_pk_mul_f16 v49, 0x38b4, v52 op_sel_hi:[0,1]
	v_pk_fma_f16 v52, v57, 0.5, v20 op_sel_hi:[1,0,1] neg_lo:[1,0,0] neg_hi:[1,0,0]
	v_pk_fma_f16 v20, v102, 0.5, v20 op_sel_hi:[1,0,1] neg_lo:[1,0,0] neg_hi:[1,0,0]
	v_pk_mul_f16 v53, 0x3b9c, v58 op_sel_hi:[0,1]
	v_pk_mul_f16 v56, 0x3b9c, v59 op_sel_hi:[0,1]
	v_pk_add_f16 v8, v8, v9
	v_pk_add_f16 v9, v40, v45 op_sel:[0,1] op_sel_hi:[1,0]
	v_pk_add_f16 v40, v40, v45 op_sel:[0,1] op_sel_hi:[1,0] neg_lo:[0,1] neg_hi:[0,1]
	v_pk_add_f16 v45, v4, v43 op_sel:[0,1] op_sel_hi:[1,0] neg_lo:[0,1] neg_hi:[0,1]
	v_pk_add_f16 v4, v4, v43 op_sel:[0,1] op_sel_hi:[1,0]
	v_pk_add_f16 v10, v25, v10
	v_pk_add_f16 v7, v7, v26
	v_pk_add_f16 v25, v41, v48 op_sel:[0,1] op_sel_hi:[1,0]
	v_pk_add_f16 v26, v41, v48 op_sel:[0,1] op_sel_hi:[1,0] neg_lo:[0,1] neg_hi:[0,1]
	v_pk_mul_f16 v51, 0x38b4, v51 op_sel_hi:[0,1]
	v_pk_add_f16 v41, v3, v50 op_sel:[0,1] op_sel_hi:[1,0] neg_lo:[0,1] neg_hi:[0,1]
	v_pk_add_f16 v3, v3, v50 op_sel:[0,1] op_sel_hi:[1,0]
	v_pk_mul_f16 v54, 0x38b4, v59 op_sel_hi:[0,1]
	v_pk_mul_f16 v57, 0x38b4, v58 op_sel_hi:[0,1]
	v_pk_add_f16 v43, v52, v53 op_sel:[0,1] op_sel_hi:[1,0]
	v_pk_add_f16 v48, v52, v53 op_sel:[0,1] op_sel_hi:[1,0] neg_lo:[0,1] neg_hi:[0,1]
	v_pk_add_f16 v50, v20, v56 op_sel:[0,1] op_sel_hi:[1,0] neg_lo:[0,1] neg_hi:[0,1]
	v_pk_add_f16 v20, v20, v56 op_sel:[0,1] op_sel_hi:[1,0]
	v_pk_add_f16 v8, v8, v12
	v_pk_add_f16 v9, v9, v46 op_sel:[0,1] op_sel_hi:[1,0]
	v_pk_add_f16 v12, v40, v46 op_sel:[0,1] op_sel_hi:[1,0] neg_lo:[0,1] neg_hi:[0,1]
	v_pk_add_f16 v40, v45, v42 op_sel:[0,1] op_sel_hi:[1,0]
	v_pk_add_f16 v4, v4, v42 op_sel:[0,1] op_sel_hi:[1,0] neg_lo:[0,1] neg_hi:[0,1]
	v_pk_add_f16 v7, v7, v11
	v_pk_add_f16 v11, v25, v49 op_sel:[0,1] op_sel_hi:[1,0]
	v_pk_add_f16 v25, v26, v49 op_sel:[0,1] op_sel_hi:[1,0] neg_lo:[0,1] neg_hi:[0,1]
	v_pk_add_f16 v26, v41, v51 op_sel:[0,1] op_sel_hi:[1,0]
	v_pk_add_f16 v3, v3, v51 op_sel:[0,1] op_sel_hi:[1,0] neg_lo:[0,1] neg_hi:[0,1]
	;; [unrolled: 5-line block ×3, first 2 shown]
	v_bfi_b32 v43, 0xffff, v9, v12
	v_bfi_b32 v45, 0xffff, v40, v4
	;; [unrolled: 1-line block ×8, first 2 shown]
	v_pk_add_f16 v55, v60, v61
	v_pk_add_f16 v6, v6, v103
	v_bfi_b32 v25, 0xffff, v39, v41
	v_bfi_b32 v26, 0xffff, v42, v20
	;; [unrolled: 1-line block ×4, first 2 shown]
	v_pk_fma_f16 v42, 0x34f2, v5, v45 op_sel_hi:[0,1,1]
	v_pk_fma_f16 v4, 0x34f2, v5, v4 op_sel_hi:[0,1,1]
	;; [unrolled: 1-line block ×8, first 2 shown]
	global_inv scope:SCOPE_SE
	v_pk_fma_f16 v21, 0x34f2, v55, v25 op_sel_hi:[0,1,1]
	v_pk_fma_f16 v25, 0x34f2, v6, v26 op_sel_hi:[0,1,1]
	;; [unrolled: 1-line block ×4, first 2 shown]
	ds_store_2addr_b32 v183, v7, v9 offset1:1
	ds_store_2addr_b32 v183, v12, v3 offset0:2 offset1:3
	ds_store_b32 v183, v11 offset:16
	ds_store_2addr_b32 v185, v8, v41 offset1:1
	ds_store_2addr_b32 v185, v42, v4 offset0:2 offset1:3
	ds_store_b32 v185, v5 offset:16
	;; [unrolled: 3-line block ×3, first 2 shown]
	global_wb scope:SCOPE_SE
	s_wait_dscnt 0x0
	s_barrier_signal -1
	s_barrier_wait -1
	global_inv scope:SCOPE_SE
	global_load_b64 v[60:61], v37, s[6:7]
	v_lshlrev_b32_e32 v3, 2, v22
	s_clause 0x3
	global_load_b64 v[52:53], v17, s[6:7]
	global_load_b64 v[54:55], v38, s[6:7]
	;; [unrolled: 1-line block ×4, first 2 shown]
	v_mul_lo_u16 v3, 0x89, v2
	v_mul_u32_u24_e32 v4, 0x8889, v101
	v_mul_u32_u24_e32 v6, 0x8889, v23
	;; [unrolled: 1-line block ×4, first 2 shown]
	v_lshrrev_b16 v13, 11, v3
	v_and_b32_e32 v3, 0xffff, v27
	v_lshrrev_b32_e32 v17, 19, v4
	v_lshrrev_b32_e32 v22, 19, v6
	;; [unrolled: 1-line block ×3, first 2 shown]
	v_mul_lo_u16 v5, v13, 15
	v_mul_u32_u24_e32 v3, 15, v3
	v_lshrrev_b32_e32 v38, 19, v8
	v_mul_lo_u16 v6, v22, 15
	v_mul_lo_u16 v7, v37, 15
	v_sub_nc_u16 v4, v14, v5
	v_mul_lo_u16 v5, v17, 15
	v_mul_lo_u16 v8, v38, 15
	v_add_lshl_u32 v168, v3, v36, 2
	v_sub_nc_u16 v40, v16, v6
	v_sub_nc_u16 v41, v18, v7
	;; [unrolled: 1-line block ×4, first 2 shown]
	v_mad_u16 v3, v30, 15, v32
	v_mad_u16 v5, v29, 15, v34
	;; [unrolled: 1-line block ×3, first 2 shown]
	v_lshlrev_b16 v7, 3, v36
	v_lshlrev_b16 v8, 3, v40
	;; [unrolled: 1-line block ×4, first 2 shown]
	v_and_b32_e32 v3, 0xffff, v3
	v_and_b32_e32 v5, 0xffff, v5
	;; [unrolled: 1-line block ×5, first 2 shown]
	v_mad_u16 v4, v31, 15, v33
	v_and_b32_e32 v25, 0xffff, v8
	v_and_b32_e32 v31, 0xffff, v9
	;; [unrolled: 1-line block ×3, first 2 shown]
	v_lshlrev_b32_e32 v172, 2, v3
	v_lshlrev_b32_e32 v170, 2, v5
	;; [unrolled: 1-line block ×3, first 2 shown]
	v_add_co_u32 v3, s2, s6, v7
	ds_load_2addr_b32 v[5:6], v98 offset0:8 offset1:251
	ds_load_b32 v34, v62 offset:13608
	ds_load_2addr_b32 v[7:8], v94 offset0:12 offset1:255
	ds_load_2addr_b32 v[9:10], v85 offset0:6 offset1:249
	;; [unrolled: 1-line block ×3, first 2 shown]
	ds_load_2addr_b32 v[20:21], v62 offset1:243
	ds_load_2addr_b32 v[27:28], v95 offset0:4 offset1:247
	ds_load_2addr_b32 v[29:30], v97 offset0:6 offset1:249
	v_and_b32_e32 v4, 0xffff, v4
	v_lshlrev_b32_e32 v42, 3, v39
	global_wb scope:SCOPE_SE
	s_wait_loadcnt_dscnt 0x0
	s_barrier_signal -1
	s_barrier_wait -1
	v_lshlrev_b32_e32 v171, 2, v4
	s_wait_alu 0xf1ff
	v_add_co_ci_u32_e64 v4, null, s7, 0, s2
	v_add_co_u32 v25, s2, s6, v25
	s_wait_alu 0xf1ff
	v_add_co_ci_u32_e64 v26, null, s7, 0, s2
	v_add_co_u32 v31, s2, s6, v31
	v_lshrrev_b32_e32 v35, 16, v6
	v_lshrrev_b32_e32 v43, 16, v34
	;; [unrolled: 1-line block ×15, first 2 shown]
	s_wait_alu 0xf1ff
	v_add_co_ci_u32_e64 v32, null, s7, 0, s2
	global_inv scope:SCOPE_SE
	v_mul_lo_u16 v2, 0x6d, v2
	s_delay_alu instid0(VALU_DEP_1)
	v_lshrrev_b16 v2, 8, v2
	v_lshrrev_b32_e32 v174, 16, v52
	v_lshrrev_b32_e32 v181, 16, v60
	;; [unrolled: 1-line block ×10, first 2 shown]
	v_mul_f16_e64 v108, v35, v181
	v_mul_f16_e64 v109, v43, v182
	v_mul_f16_e64 v110, v6, v181
	v_mul_f16_e64 v111, v34, v182
	v_mul_f16_e64 v112, v45, v174
	v_mul_f16_e64 v113, v8, v174
	v_mul_f16_e64 v114, v46, v173
	v_mul_f16_e64 v116, v10, v175
	v_mul_f16_e64 v117, v9, v173
	v_mul_f16_e64 v118, v11, v176
	v_mul_f16_e64 v115, v47, v175
	v_mul_f16_e64 v119, v48, v176
	v_mul_f16_e64 v120, v51, v178
	v_mul_f16_e64 v121, v12, v178
	v_mul_f16_e64 v123, v5, v180
	v_mul_f16_e64 v124, v104, v177
	v_mul_f16_e64 v126, v27, v177
	v_mul_f16_e64 v127, v28, v179
	v_mul_f16_e64 v122, v103, v180
	v_mul_f16_e64 v125, v105, v179
	v_fma_f16 v6, v6, v60, -v108
	v_fma_f16 v34, v34, v61, -v109
	v_fmac_f16_e32 v110, v35, v60
	v_fmac_f16_e32 v111, v43, v61
	v_fma_f16 v8, v8, v52, -v112
	v_fma_f16 v9, v9, v53, -v114
	v_fmac_f16_e32 v116, v47, v55
	v_fmac_f16_e32 v118, v48, v54
	;; [unrolled: 1-line block ×4, first 2 shown]
	v_fma_f16 v10, v10, v55, -v115
	v_fma_f16 v11, v11, v54, -v119
	;; [unrolled: 1-line block ×4, first 2 shown]
	v_fmac_f16_e32 v121, v51, v56
	v_fmac_f16_e32 v126, v104, v57
	;; [unrolled: 1-line block ×4, first 2 shown]
	v_fma_f16 v5, v5, v58, -v122
	v_fma_f16 v28, v28, v59, -v125
	v_add_f16_e32 v35, v6, v34
	v_add_f16_e32 v45, v110, v111
	v_sub_f16_e32 v46, v110, v111
	v_add_f16_e32 v47, v44, v110
	v_add_f16_e32 v103, v118, v116
	;; [unrolled: 1-line block ×9, first 2 shown]
	v_sub_f16_e32 v105, v118, v116
	v_add_f16_e32 v118, v123, v127
	v_add_f16_e32 v119, v106, v123
	v_sub_f16_e32 v120, v123, v127
	v_add_f16_e32 v122, v12, v27
	v_add_f16_e32 v123, v29, v12
	;; [unrolled: 1-line block ×5, first 2 shown]
	v_sub_f16_e32 v11, v11, v10
	v_sub_f16_e32 v8, v8, v9
	;; [unrolled: 1-line block ×3, first 2 shown]
	v_add_f16_e32 v114, v5, v28
	v_fmac_f16_e32 v7, -0.5, v35
	v_fmac_f16_e32 v49, -0.5, v103
	v_fma_f16 v20, -0.5, v108, v20
	v_add_f16_e32 v9, v109, v9
	v_add_f16_e32 v35, v110, v117
	v_fmac_f16_e32 v50, -0.5, v112
	v_sub_f16_e32 v6, v6, v34
	v_fmac_f16_e32 v44, -0.5, v45
	v_fmac_f16_e32 v21, -0.5, v48
	v_add_f16_e32 v115, v30, v5
	v_sub_f16_e32 v5, v5, v28
	v_sub_f16_e32 v121, v121, v126
	;; [unrolled: 1-line block ×3, first 2 shown]
	v_add_f16_e32 v10, v51, v10
	v_add_f16_e32 v45, v104, v116
	v_fmac_f16_e32 v106, -0.5, v118
	v_fma_f16 v29, -0.5, v122, v29
	v_add_f16_e32 v48, v124, v126
	v_add_f16_e32 v27, v123, v27
	v_fmac_f16_e32 v107, -0.5, v125
	v_fmac_f16_e32 v30, -0.5, v114
	v_fmamk_f16 v103, v11, 0xbaee, v49
	v_fmac_f16_e32 v49, 0x3aee, v11
	v_pack_b32_f16 v9, v9, v35
	v_fmamk_f16 v11, v113, 0x3aee, v20
	v_fmamk_f16 v35, v8, 0xbaee, v50
	v_fmac_f16_e32 v20, 0xbaee, v113
	v_fmac_f16_e32 v50, 0x3aee, v8
	v_add_f16_e32 v34, v43, v34
	v_add_f16_e32 v43, v47, v111
	v_fmamk_f16 v47, v46, 0x3aee, v7
	v_fmac_f16_e32 v7, 0xbaee, v46
	v_fmamk_f16 v46, v6, 0xbaee, v44
	v_fmac_f16_e32 v44, 0x3aee, v6
	v_fmamk_f16 v6, v105, 0x3aee, v21
	v_fmac_f16_e32 v21, 0xbaee, v105
	v_pack_b32_f16 v8, v10, v45
	v_fmamk_f16 v45, v5, 0xbaee, v106
	v_fmac_f16_e32 v106, 0x3aee, v5
	v_pack_b32_f16 v5, v27, v48
	v_fmamk_f16 v27, v121, 0x3aee, v29
	v_fmamk_f16 v48, v12, 0xbaee, v107
	v_add_f16_e32 v28, v115, v28
	v_add_f16_e32 v51, v119, v127
	v_fmamk_f16 v10, v120, 0x3aee, v30
	v_fmac_f16_e32 v30, 0xbaee, v120
	v_fmac_f16_e32 v29, 0xbaee, v121
	;; [unrolled: 1-line block ×3, first 2 shown]
	v_pack_b32_f16 v11, v11, v35
	v_pack_b32_f16 v20, v20, v50
	;; [unrolled: 1-line block ×12, first 2 shown]
	ds_store_2addr_b32 v168, v9, v11 offset1:5
	ds_store_b32 v168, v20 offset:40
	ds_store_2addr_b32 v172, v8, v6 offset1:5
	ds_store_b32 v172, v21 offset:40
	;; [unrolled: 2-line block ×5, first 2 shown]
	global_wb scope:SCOPE_SE
	s_wait_dscnt 0x0
	s_barrier_signal -1
	s_barrier_wait -1
	global_inv scope:SCOPE_SE
	global_load_b64 v[46:47], v[3:4], off offset:40
	v_add_co_u32 v3, s2, s6, v33
	s_wait_alu 0xf1ff
	v_add_co_ci_u32_e64 v4, null, s7, 0, s2
	s_clause 0x3
	global_load_b64 v[42:43], v42, s[6:7] offset:40
	global_load_b64 v[44:45], v[25:26], off offset:40
	global_load_b64 v[48:49], v[31:32], off offset:40
	;; [unrolled: 1-line block ×3, first 2 shown]
	v_sub_nc_u16 v4, v14, v2
	v_mul_u32_u24_e32 v5, 0x2d83, v101
	v_mul_u32_u24_e32 v6, 0x2d83, v23
	;; [unrolled: 1-line block ×4, first 2 shown]
	v_lshrrev_b16 v4, 1, v4
	v_lshrrev_b32_e32 v31, 19, v5
	v_lshrrev_b32_e32 v103, 19, v6
	;; [unrolled: 1-line block ×4, first 2 shown]
	v_and_b32_e32 v4, 0x7f, v4
	v_mul_lo_u16 v5, v31, 45
	v_mul_lo_u16 v6, v103, 45
	;; [unrolled: 1-line block ×4, first 2 shown]
	v_add_nc_u16 v2, v4, v2
	v_and_b32_e32 v3, 0xffff, v13
	v_sub_nc_u16 v106, v15, v5
	v_sub_nc_u16 v107, v16, v6
	;; [unrolled: 1-line block ×4, first 2 shown]
	v_mad_u16 v4, v37, 45, v41
	v_mad_u16 v5, v38, 45, v102
	;; [unrolled: 1-line block ×3, first 2 shown]
	v_lshrrev_b16 v17, 5, v2
	v_mul_u32_u24_e32 v3, 45, v3
	v_lshlrev_b16 v7, 3, v107
	v_lshlrev_b16 v8, 3, v108
	;; [unrolled: 1-line block ×3, first 2 shown]
	v_and_b32_e32 v4, 0xffff, v4
	v_and_b32_e32 v5, 0xffff, v5
	v_and_b32_e32 v6, 0xffff, v6
	v_mul_lo_u16 v10, v17, 45
	v_add_lshl_u32 v153, v3, v39, 2
	v_mad_u16 v3, v22, 45, v40
	v_and_b32_e32 v11, 0xffff, v7
	v_and_b32_e32 v22, 0xffff, v8
	;; [unrolled: 1-line block ×3, first 2 shown]
	v_lshlrev_b32_e32 v156, 2, v4
	v_lshlrev_b32_e32 v155, 2, v5
	v_lshlrev_b32_e32 v154, 2, v6
	v_sub_nc_u16 v25, v14, v10
	ds_load_b32 v33, v62 offset:13608
	ds_load_2addr_b32 v[4:5], v98 offset0:8 offset1:251
	ds_load_2addr_b32 v[6:7], v94 offset0:12 offset1:255
	;; [unrolled: 1-line block ×4, first 2 shown]
	ds_load_2addr_b32 v[20:21], v62 offset1:243
	v_lshlrev_b16 v2, 3, v106
	v_and_b32_e32 v3, 0xffff, v3
	v_and_b32_e32 v102, 0xff, v25
	ds_load_2addr_b32 v[25:26], v95 offset0:4 offset1:247
	ds_load_2addr_b32 v[27:28], v97 offset0:6 offset1:249
	global_wb scope:SCOPE_SE
	s_wait_loadcnt_dscnt 0x0
	v_and_b32_e32 v2, 0xffff, v2
	v_lshlrev_b32_e32 v157, 2, v3
	s_barrier_signal -1
	s_barrier_wait -1
	global_inv scope:SCOPE_SE
	v_add_co_u32 v2, s2, s6, v2
	s_wait_alu 0xf1ff
	v_add_co_ci_u32_e64 v3, null, s7, 0, s2
	v_add_co_u32 v10, s2, s6, v11
	v_lshrrev_b32_e32 v34, 16, v33
	v_lshrrev_b32_e32 v35, 16, v5
	;; [unrolled: 1-line block ×15, first 2 shown]
	s_wait_alu 0xf1ff
	v_add_co_ci_u32_e64 v11, null, s7, 0, s2
	v_add_co_u32 v29, s2, s6, v22
	v_lshlrev_b32_e32 v22, 3, v102
	s_wait_alu 0xf1ff
	v_add_co_ci_u32_e64 v30, null, s7, 0, s2
	v_lshrrev_b32_e32 v163, 16, v47
	v_lshrrev_b32_e32 v165, 16, v46
	;; [unrolled: 1-line block ×10, first 2 shown]
	v_mul_f16_e64 v117, v34, v163
	v_mul_f16_e64 v118, v33, v163
	;; [unrolled: 1-line block ×20, first 2 shown]
	v_fma_f16 v33, v33, v47, -v117
	v_fmac_f16_e32 v118, v34, v47
	v_fmac_f16_e32 v119, v35, v46
	v_fma_f16 v5, v5, v46, -v120
	v_fma_f16 v7, v7, v42, -v121
	;; [unrolled: 1-line block ×3, first 2 shown]
	v_fmac_f16_e32 v125, v39, v45
	v_fmac_f16_e32 v127, v40, v44
	v_fmac_f16_e32 v122, v37, v42
	v_fmac_f16_e32 v126, v38, v43
	v_fma_f16 v9, v9, v45, -v124
	v_fma_f16 v12, v12, v44, -v128
	;; [unrolled: 1-line block ×4, first 2 shown]
	v_fmac_f16_e64 v130, v111, v48
	v_fmac_f16_e64 v135, v113, v49
	;; [unrolled: 1-line block ×4, first 2 shown]
	v_fma_f16 v4, v4, v50, -v131
	v_fma_f16 v26, v26, v51, -v134
	v_add_f16_e32 v34, v5, v33
	v_add_f16_e32 v37, v119, v118
	;; [unrolled: 1-line block ×3, first 2 shown]
	v_sub_f16_e32 v39, v119, v118
	v_add_f16_e32 v112, v127, v125
	v_add_f16_e32 v117, v7, v8
	;; [unrolled: 1-line block ×8, first 2 shown]
	v_sub_f16_e32 v114, v127, v125
	v_add_f16_e64 v127, v132, v136
	v_add_f16_e64 v128, v115, v132
	v_sub_f16_e64 v129, v132, v136
	v_add_f16_e64 v131, v13, v25
	v_add_f16_e64 v132, v27, v13
	;; [unrolled: 1-line block ×4, first 2 shown]
	v_add_f16_e32 v35, v6, v5
	v_sub_f16_e32 v12, v12, v9
	v_sub_f16_e32 v7, v7, v8
	;; [unrolled: 1-line block ×3, first 2 shown]
	v_add_f16_e32 v123, v4, v26
	v_fmac_f16_e32 v6, -0.5, v34
	v_fmac_f16_e32 v41, -0.5, v112
	v_fma_f16 v20, -0.5, v117, v20
	v_add_f16_e32 v8, v119, v8
	v_add_f16_e32 v34, v120, v126
	v_fmac_f16_e32 v110, -0.5, v121
	v_sub_f16_e32 v5, v5, v33
	v_fmac_f16_e32 v36, -0.5, v37
	v_fmac_f16_e32 v21, -0.5, v40
	v_add_f16_e32 v124, v28, v4
	v_sub_f16_e32 v4, v4, v26
	v_sub_f16_e64 v130, v130, v135
	v_sub_f16_e32 v13, v13, v25
	v_add_f16_e32 v9, v111, v9
	v_add_f16_e32 v37, v113, v125
	v_fmac_f16_e32 v115, -0.5, v127
	v_fma_f16 v27, -0.5, v131, v27
	v_add_f16_e64 v40, v133, v135
	v_add_f16_e64 v25, v132, v25
	v_fmac_f16_e64 v116, -0.5, v134
	v_fmac_f16_e32 v28, -0.5, v123
	v_fmamk_f16 v112, v12, 0xbaee, v41
	v_fmac_f16_e32 v41, 0x3aee, v12
	v_pack_b32_f16 v8, v8, v34
	v_fmamk_f16 v12, v122, 0x3aee, v20
	v_fmamk_f16 v34, v7, 0xbaee, v110
	v_fmac_f16_e32 v20, 0xbaee, v122
	v_fmac_f16_e32 v110, 0x3aee, v7
	v_add_f16_e32 v33, v35, v33
	v_add_f16_e32 v35, v38, v118
	v_fmamk_f16 v38, v39, 0x3aee, v6
	v_fmac_f16_e32 v6, 0xbaee, v39
	v_fmamk_f16 v39, v5, 0xbaee, v36
	v_fmac_f16_e32 v36, 0x3aee, v5
	;; [unrolled: 2-line block ×3, first 2 shown]
	v_pack_b32_f16 v7, v9, v37
	v_fmamk_f16 v37, v4, 0xbaee, v115
	v_fmac_f16_e32 v115, 0x3aee, v4
	v_pack_b32_f16 v4, v25, v40
	v_fma_f16 v25, 0x3aee, v130, v27
	v_fmamk_f16 v40, v13, 0xbaee, v116
	v_add_f16_e32 v26, v124, v26
	v_add_f16_e64 v111, v128, v136
	v_fma_f16 v9, 0x3aee, v129, v28
	v_fmac_f16_e64 v28, 0xbaee, v129
	v_fmac_f16_e64 v27, 0xbaee, v130
	v_fmac_f16_e32 v116, 0x3aee, v13
	v_pack_b32_f16 v12, v12, v34
	v_pack_b32_f16 v20, v20, v110
	;; [unrolled: 1-line block ×12, first 2 shown]
	ds_store_2addr_b32 v153, v8, v12 offset1:15
	ds_store_b32 v153, v20 offset:120
	ds_store_2addr_b32 v157, v7, v5 offset1:15
	ds_store_b32 v157, v21 offset:120
	;; [unrolled: 2-line block ×5, first 2 shown]
	global_wb scope:SCOPE_SE
	s_wait_dscnt 0x0
	s_barrier_signal -1
	s_barrier_wait -1
	global_inv scope:SCOPE_SE
	global_load_b64 v[36:37], v[2:3], off offset:160
	v_add_co_u32 v2, s2, s6, v32
	s_wait_alu 0xf1ff
	v_add_co_ci_u32_e64 v3, null, s7, 0, s2
	s_clause 0x3
	global_load_b64 v[32:33], v22, s[6:7] offset:160
	global_load_b64 v[34:35], v[10:11], off offset:160
	global_load_b64 v[38:39], v[29:30], off offset:160
	;; [unrolled: 1-line block ×3, first 2 shown]
	v_mul_u32_u24_e32 v4, 0x795d, v101
	v_mul_u32_u24_e32 v5, 0x795d, v23
	;; [unrolled: 1-line block ×4, first 2 shown]
	v_add_co_u32 v2, s2, 0xffffff79, v0
	v_lshrrev_b32_e32 v110, 22, v4
	v_lshrrev_b32_e32 v111, 22, v5
	v_lshrrev_b32_e32 v112, 22, v6
	v_lshrrev_b32_e32 v114, 22, v7
	s_wait_alu 0xf1ff
	v_add_co_ci_u32_e64 v3, null, 0, -1, s2
	v_mul_lo_u16 v5, 0x87, v110
	v_mul_lo_u16 v6, 0x87, v111
	;; [unrolled: 1-line block ×4, first 2 shown]
	v_and_b32_e32 v13, 0xffff, v17
	v_sub_nc_u16 v115, v15, v5
	v_sub_nc_u16 v116, v16, v6
	;; [unrolled: 1-line block ×4, first 2 shown]
	v_mad_u16 v5, 0x87, v103, v107
	v_mad_u16 v7, 0x87, v105, v109
	v_mad_u16 v8, 0x87, v31, v106
	v_lshlrev_b16 v9, 3, v115
	v_lshlrev_b16 v10, 3, v116
	;; [unrolled: 1-line block ×4, first 2 shown]
	v_and_b32_e32 v5, 0xffff, v5
	v_and_b32_e32 v7, 0xffff, v7
	;; [unrolled: 1-line block ×4, first 2 shown]
	v_mad_u16 v6, 0x87, v104, v108
	v_and_b32_e32 v17, 0xffff, v10
	v_and_b32_e32 v30, 0xffff, v11
	v_and_b32_e32 v103, 0xffff, v12
	v_lshlrev_b32_e32 v141, 2, v5
	v_lshlrev_b32_e32 v139, 2, v7
	;; [unrolled: 1-line block ×3, first 2 shown]
	v_add_co_u32 v5, s2, s6, v9
	ds_load_b32 v104, v62 offset:13608
	ds_load_2addr_b32 v[7:8], v98 offset0:8 offset1:251
	ds_load_2addr_b32 v[9:10], v94 offset0:12 offset1:255
	;; [unrolled: 1-line block ×4, first 2 shown]
	ds_load_2addr_b32 v[22:23], v62 offset1:243
	ds_load_2addr_b32 v[26:27], v95 offset0:4 offset1:247
	ds_load_2addr_b32 v[28:29], v97 offset0:6 offset1:249
	v_and_b32_e32 v6, 0xffff, v6
	v_mul_u32_u24_e32 v13, 0x87, v13
	s_wait_alu 0xfffd
	v_cndmask_b32_e32 v2, v2, v0, vcc_lo
	v_cndmask_b32_e64 v3, v3, 0, vcc_lo
	global_wb scope:SCOPE_SE
	s_wait_loadcnt_dscnt 0x0
	v_lshlrev_b32_e32 v140, 2, v6
	s_wait_alu 0xf1ff
	v_add_co_ci_u32_e64 v6, null, s7, 0, s2
	v_add_co_u32 v24, s2, s6, v17
	v_add_lshl_u32 v142, v13, v102, 2
	v_lshlrev_b64_e32 v[3:4], 3, v[2:3]
	s_wait_alu 0xf1ff
	v_add_co_ci_u32_e64 v25, null, s7, 0, s2
	v_lshrrev_b32_e32 v13, 16, v104
	v_lshrrev_b32_e32 v17, 16, v8
	;; [unrolled: 1-line block ×15, first 2 shown]
	v_add_co_u32 v3, vcc_lo, s6, v3
	v_add_co_u32 v30, s2, s6, v30
	s_wait_alu 0xfffd
	v_add_co_ci_u32_e32 v4, vcc_lo, s7, v4, vcc_lo
	s_wait_alu 0xf1ff
	v_add_co_ci_u32_e64 v31, null, s7, 0, s2
	s_barrier_signal -1
	s_barrier_wait -1
	global_inv scope:SCOPE_SE
	v_cmp_gt_u16_e32 vcc_lo, 0xa2, v14
	v_lshlrev_b32_e32 v18, 3, v18
	v_lshrrev_b32_e32 v148, 16, v37
	v_lshrrev_b32_e32 v150, 16, v36
	;; [unrolled: 1-line block ×10, first 2 shown]
	v_mul_f16_e64 v125, v13, v148
	v_mul_f16_e64 v128, v17, v150
	;; [unrolled: 1-line block ×20, first 2 shown]
	v_fma_f16 v11, v11, v33, -v129
	v_fma_f16 v104, v104, v37, -v125
	v_fmac_f16_e64 v131, v107, v35
	v_fmac_f16_e64 v135, v108, v34
	v_fmac_f16_e64 v188, v105, v32
	v_fmac_f16_e64 v134, v106, v33
	v_fma_f16 v8, v8, v36, -v128
	v_fma_f16 v10, v10, v32, -v137
	v_fma_f16 v12, v12, v35, -v130
	v_fma_f16 v20, v20, v34, -v132
	v_fmac_f16_e32 v126, v13, v37
	v_fmac_f16_e32 v127, v17, v36
	v_fma_f16 v21, v21, v38, -v133
	v_fma_f16 v7, v7, v40, -v189
	;; [unrolled: 1-line block ×4, first 2 shown]
	v_fmac_f16_e64 v136, v119, v38
	v_fmac_f16_e64 v193, v121, v39
	;; [unrolled: 1-line block ×4, first 2 shown]
	v_add_f16_e32 v26, v8, v104
	v_add_f16_e64 v119, v135, v131
	v_add_f16_e32 v122, v10, v11
	v_add_f16_e32 v125, v22, v10
	v_add_f16_e64 v128, v113, v188
	v_add_f16_e64 v129, v188, v134
	v_add_f16_e32 v105, v127, v126
	v_add_f16_e32 v107, v20, v12
	v_add_f16_e32 v108, v23, v20
	v_add_f16_e64 v120, v109, v135
	v_sub_f16_e64 v121, v135, v131
	v_sub_f16_e64 v130, v188, v134
	v_add_f16_e64 v132, v7, v17
	v_add_f16_e64 v135, v190, v194
	;; [unrolled: 1-line block ×6, first 2 shown]
	v_add_f16_e32 v27, v9, v8
	v_sub_f16_e32 v20, v20, v12
	v_sub_f16_e32 v10, v10, v11
	v_fmac_f16_e32 v9, -0.5, v26
	v_fmac_f16_e32 v109, -0.5, v119
	v_add_f16_e32 v11, v125, v11
	v_add_f16_e64 v26, v128, v134
	v_fmac_f16_e64 v113, -0.5, v129
	v_fma_f16 v22, -0.5, v122, v22
	v_add_f16_e32 v106, v102, v127
	v_sub_f16_e32 v8, v8, v104
	v_fmac_f16_e32 v102, -0.5, v105
	v_fmac_f16_e32 v23, -0.5, v107
	v_add_f16_e64 v133, v29, v7
	v_add_f16_e64 v137, v123, v190
	v_sub_f16_e64 v136, v136, v193
	v_sub_f16_e32 v21, v21, v13
	v_sub_f16_e32 v7, v7, v17
	v_sub_f16_e64 v190, v190, v194
	v_add_f16_e32 v12, v108, v12
	v_add_f16_e64 v105, v120, v131
	v_fmac_f16_e64 v29, -0.5, v132
	v_fmac_f16_e64 v123, -0.5, v135
	v_add_f16_e64 v107, v188, v193
	v_add_f16_e64 v13, v189, v13
	v_fmac_f16_e64 v124, -0.5, v191
	v_fma_f16 v28, -0.5, v192, v28
	v_sub_f16_e32 v127, v127, v126
	v_fmamk_f16 v120, v20, 0xbaee, v109
	v_fmac_f16_e32 v109, 0x3aee, v20
	v_pack_b32_f16 v11, v11, v26
	v_fma_f16 v20, 0x3aee, v130, v22
	v_fmamk_f16 v26, v10, 0xbaee, v113
	v_fmac_f16_e64 v22, 0xbaee, v130
	v_fmac_f16_e32 v113, 0x3aee, v10
	v_fmamk_f16 v119, v8, 0xbaee, v102
	v_fmac_f16_e32 v102, 0x3aee, v8
	v_fmamk_f16 v8, v121, 0x3aee, v23
	v_fmac_f16_e32 v23, 0xbaee, v121
	v_add_f16_e32 v27, v27, v104
	v_add_f16_e32 v104, v106, v126
	v_pack_b32_f16 v10, v12, v105
	v_fma_f16 v12, 0x3aee, v190, v29
	v_fmac_f16_e64 v29, 0xbaee, v190
	v_fmamk_f16 v105, v7, 0xbaee, v123
	v_fmac_f16_e32 v123, 0x3aee, v7
	v_pack_b32_f16 v7, v13, v107
	v_fma_f16 v13, 0x3aee, v136, v28
	v_fmamk_f16 v107, v21, 0xbaee, v124
	v_fmac_f16_e64 v28, 0xbaee, v136
	v_fmac_f16_e32 v124, 0x3aee, v21
	v_add_f16_e64 v17, v133, v17
	v_add_f16_e64 v108, v137, v194
	v_fmamk_f16 v106, v127, 0x3aee, v9
	v_fmac_f16_e32 v9, 0xbaee, v127
	v_pack_b32_f16 v20, v20, v26
	v_pack_b32_f16 v22, v22, v113
	;; [unrolled: 1-line block ×12, first 2 shown]
	ds_store_2addr_b32 v142, v11, v20 offset1:45
	ds_store_b32 v142, v22 offset:360
	ds_store_2addr_b32 v141, v10, v8 offset1:45
	ds_store_b32 v141, v23 offset:360
	;; [unrolled: 2-line block ×5, first 2 shown]
	global_wb scope:SCOPE_SE
	s_wait_dscnt 0x0
	s_barrier_signal -1
	s_barrier_wait -1
	global_inv scope:SCOPE_SE
	global_load_b64 v[26:27], v[5:6], off offset:520
	v_add_co_u32 v5, s2, s6, v103
	s_wait_alu 0xf1ff
	v_add_co_ci_u32_e64 v6, null, s7, 0, s2
	s_clause 0x3
	global_load_b64 v[22:23], v[3:4], off offset:520
	global_load_b64 v[24:25], v[24:25], off offset:520
	;; [unrolled: 1-line block ×4, first 2 shown]
	v_mul_u32_u24_e32 v3, 0x43a3, v101
	v_mul_u32_u24_e32 v4, 0x43a3, v100
	v_add_co_u32 v5, s2, 0xffffff5e, v0
	s_wait_alu 0xf1ff
	v_add_co_ci_u32_e64 v6, null, 0, -1, s2
	v_lshrrev_b32_e32 v7, 16, v3
	v_lshrrev_b32_e32 v8, 16, v4
	s_wait_alu 0xfffd
	s_delay_alu instid0(VALU_DEP_3)
	v_dual_cndmask_b32 v12, v5, v16 :: v_dual_cndmask_b32 v13, v6, v99
	v_cmp_lt_u16_e32 vcc_lo, 0x86, v14
	v_sub_nc_u16 v3, v15, v7
	v_sub_nc_u16 v4, v19, v8
	v_lshlrev_b32_e32 v17, 3, v0
	s_wait_alu 0xfffd
	v_cndmask_b32_e64 v5, 0, 0x195, vcc_lo
	v_lshrrev_b16 v6, 1, v3
	v_lshrrev_b16 v9, 1, v4
	v_lshlrev_b64_e32 v[3:4], 3, v[12:13]
	s_delay_alu instid0(VALU_DEP_4) | instskip(NEXT) | instid1(VALU_DEP_4)
	v_add_lshl_u32 v113, v2, v5, 2
	v_add_nc_u16 v2, v6, v7
	s_delay_alu instid0(VALU_DEP_4) | instskip(SKIP_2) | instid1(VALU_DEP_4)
	v_add_nc_u16 v7, v9, v8
	v_mad_u16 v9, 0x195, v110, v115
	v_add_co_u32 v5, vcc_lo, s6, v3
	v_lshrrev_b16 v2, 8, v2
	s_delay_alu instid0(VALU_DEP_4)
	v_lshrrev_b16 v109, 8, v7
	v_mad_u16 v3, 0x195, v111, v116
	s_wait_alu 0xfffd
	v_add_co_ci_u32_e32 v6, vcc_lo, s7, v4, vcc_lo
	v_mul_lo_u16 v2, 0x195, v2
	v_mul_lo_u16 v8, 0x195, v109
	v_mad_u16 v4, 0x195, v112, v117
	v_mad_u16 v7, 0x195, v114, v118
	v_and_b32_e32 v3, 0xffff, v3
	v_sub_nc_u16 v110, v15, v2
	v_sub_nc_u16 v111, v19, v8
	v_and_b32_e32 v4, 0xffff, v4
	v_and_b32_e32 v2, 0xffff, v7
	;; [unrolled: 1-line block ×3, first 2 shown]
	v_lshlrev_b32_e32 v124, 2, v3
	v_lshlrev_b16 v3, 3, v110
	v_lshlrev_b16 v8, 3, v111
	v_lshlrev_b32_e32 v127, 2, v4
	v_lshlrev_b32_e32 v126, 2, v2
	;; [unrolled: 1-line block ×3, first 2 shown]
	v_and_b32_e32 v4, 0xffff, v3
	v_and_b32_e32 v11, 0xffff, v8
	ds_load_b32 v13, v62 offset:13608
	ds_load_2addr_b32 v[2:3], v98 offset0:8 offset1:251
	ds_load_2addr_b32 v[7:8], v94 offset0:12 offset1:255
	;; [unrolled: 1-line block ×5, first 2 shown]
	ds_load_2addr_b32 v[103:104], v62 offset1:243
	ds_load_2addr_b32 v[105:106], v97 offset0:6 offset1:249
	global_wb scope:SCOPE_SE
	s_wait_loadcnt_dscnt 0x0
	v_add_co_u32 v101, s2, s6, v4
	s_wait_alu 0xf1ff
	v_add_co_ci_u32_e64 v102, null, s7, 0, s2
	v_add_co_u32 v107, s2, s6, v11
	s_wait_alu 0xf1ff
	v_add_co_ci_u32_e64 v108, null, s7, 0, s2
	s_barrier_signal -1
	s_barrier_wait -1
	global_inv scope:SCOPE_SE
	v_cmp_lt_u16_e32 vcc_lo, 0xa1, v14
	v_lshrrev_b32_e32 v4, 16, v13
	v_lshrrev_b32_e32 v11, 16, v3
	;; [unrolled: 1-line block ×15, first 2 shown]
	v_lshlrev_b32_e32 v19, 3, v19
	s_add_nc_u64 s[2:3], s[4:5], 0x38f4
	v_lshrrev_b32_e32 v133, 16, v27
	v_lshrrev_b32_e32 v135, 16, v26
	;; [unrolled: 1-line block ×10, first 2 shown]
	v_mul_f16_e64 v190, v4, v133
	v_mul_f16_e64 v192, v11, v135
	;; [unrolled: 1-line block ×20, first 2 shown]
	v_fma_f16 v3, v3, v26, -v192
	v_fma_f16 v13, v13, v27, -v190
	;; [unrolled: 1-line block ×3, first 2 shown]
	v_fmac_f16_e64 v191, v4, v27
	v_fmac_f16_e64 v202, v11, v26
	;; [unrolled: 1-line block ×6, first 2 shown]
	v_fma_f16 v8, v8, v22, -v209
	v_fma_f16 v10, v10, v25, -v194
	v_fma_f16 v20, v20, v24, -v197
	v_fma_f16 v21, v21, v28, -v198
	v_fma_f16 v2, v2, v30, -v200
	v_fma_f16 v4, v99, v29, -v204
	v_fma_f16 v11, v100, v31, -v205
	v_fmac_f16_e64 v201, v117, v28
	v_fmac_f16_e64 v206, v119, v29
	;; [unrolled: 1-line block ×4, first 2 shown]
	v_add_f16_e32 v99, v3, v13
	v_add_f16_e64 v114, v202, v191
	v_add_f16_e64 v118, v199, v196
	;; [unrolled: 1-line block ×6, first 2 shown]
	v_add_f16_e32 v117, v20, v10
	v_add_f16_e32 v100, v7, v3
	v_add_f16_e32 v119, v104, v20
	v_add_f16_e64 v120, v122, v199
	v_sub_f16_e64 v192, v208, v195
	v_add_f16_e64 v198, v2, v11
	v_add_f16_e64 v200, v203, v207
	;; [unrolled: 1-line block ×5, first 2 shown]
	v_fmac_f16_e32 v7, -0.5, v99
	v_add_f16_e32 v99, v21, v4
	v_add_f16_e64 v115, v112, v202
	v_sub_f16_e64 v116, v202, v191
	v_sub_f16_e32 v8, v8, v9
	v_sub_f16_e32 v20, v20, v10
	v_fmac_f16_e32 v112, -0.5, v114
	v_fmac_f16_e32 v122, -0.5, v118
	v_add_f16_e64 v114, v121, v195
	v_add_f16_e64 v9, v193, v9
	v_fmac_f16_e64 v123, -0.5, v190
	v_fma_f16 v103, -0.5, v194, v103
	v_sub_f16_e32 v3, v3, v13
	v_sub_f16_e64 v197, v199, v196
	v_fmac_f16_e32 v104, -0.5, v117
	v_add_f16_e64 v199, v106, v2
	v_add_f16_e64 v202, v188, v203
	v_sub_f16_e64 v201, v201, v206
	v_sub_f16_e32 v21, v21, v4
	v_sub_f16_e32 v2, v2, v11
	v_sub_f16_e64 v203, v203, v207
	v_add_f16_e32 v10, v119, v10
	v_add_f16_e64 v117, v120, v196
	v_fmac_f16_e64 v106, -0.5, v198
	v_fmac_f16_e64 v188, -0.5, v200
	v_add_f16_e64 v118, v204, v206
	v_add_f16_e64 v4, v208, v4
	v_fmac_f16_e64 v189, -0.5, v205
	v_fma_f16 v99, -0.5, v99, v105
	v_fmamk_f16 v105, v116, 0x3aee, v7
	v_fmac_f16_e32 v7, 0xbaee, v116
	v_fmamk_f16 v116, v20, 0xbaee, v122
	v_fmac_f16_e32 v122, 0x3aee, v20
	v_pack_b32_f16 v9, v9, v114
	v_fma_f16 v20, 0x3aee, v192, v103
	v_fmamk_f16 v114, v8, 0xbaee, v123
	v_add_f16_e32 v13, v100, v13
	v_add_f16_e64 v100, v115, v191
	v_fmac_f16_e64 v103, 0xbaee, v192
	v_fmac_f16_e32 v123, 0x3aee, v8
	v_fmamk_f16 v115, v3, 0xbaee, v112
	v_fmac_f16_e32 v112, 0x3aee, v3
	v_fma_f16 v3, 0x3aee, v197, v104
	v_fmac_f16_e64 v104, 0xbaee, v197
	v_add_f16_e64 v11, v199, v11
	v_add_f16_e64 v119, v202, v207
	v_pack_b32_f16 v8, v10, v117
	v_fma_f16 v10, 0x3aee, v203, v106
	v_fma_f16 v117, 0xbaee, v2, v188
	v_fmac_f16_e64 v188, 0x3aee, v2
	v_pack_b32_f16 v2, v4, v118
	v_fma_f16 v4, 0x3aee, v201, v99
	v_fma_f16 v118, 0xbaee, v21, v189
	v_fmac_f16_e64 v106, 0xbaee, v203
	v_fmac_f16_e64 v99, 0xbaee, v201
	;; [unrolled: 1-line block ×3, first 2 shown]
	v_pack_b32_f16 v20, v20, v114
	v_pack_b32_f16 v13, v13, v100
	;; [unrolled: 1-line block ×12, first 2 shown]
	ds_store_2addr_b32 v113, v9, v20 offset1:135
	ds_store_b32 v113, v100 offset:1080
	ds_store_2addr_b32 v124, v8, v3 offset1:135
	ds_store_b32 v124, v21 offset:1080
	ds_store_2addr_b32 v127, v2, v4 offset1:135
	ds_store_b32 v127, v99 offset:1080
	ds_store_2addr_b32 v126, v11, v10 offset1:135
	ds_store_b32 v126, v103 offset:1080
	ds_store_2addr_b32 v125, v13, v104 offset1:135
	ds_store_b32 v125, v7 offset:1080
	global_wb scope:SCOPE_SE
	s_wait_dscnt 0x0
	s_barrier_signal -1
	s_barrier_wait -1
	global_inv scope:SCOPE_SE
	s_clause 0x4
	global_load_b64 v[2:3], v[101:102], off offset:1600
	global_load_b64 v[10:11], v17, s[6:7] offset:1600
	global_load_b64 v[6:7], v[5:6], off offset:1600
	global_load_b64 v[4:5], v[107:108], off offset:1600
	global_load_b64 v[8:9], v17, s[6:7] offset:2248
	ds_load_b32 v107, v62 offset:13608
	ds_load_2addr_b32 v[20:21], v98 offset0:8 offset1:251
	ds_load_2addr_b32 v[13:14], v94 offset0:12 offset1:255
	v_mad_u16 v103, 0x4bf, v109, v111
	ds_load_2addr_b32 v[99:100], v85 offset0:6 offset1:249
	ds_load_2addr_b32 v[101:102], v96 offset0:2 offset1:245
	s_wait_alu 0xfffd
	v_cndmask_b32_e64 v105, 0, 0x4bf, vcc_lo
	v_lshlrev_b32_e32 v108, 3, v15
	v_and_b32_e32 v109, 0xffff, v103
	ds_load_2addr_b32 v[103:104], v95 offset0:4 offset1:247
	v_and_b32_e32 v106, 0xffff, v110
	v_lshlrev_b32_e32 v188, 3, v16
	ds_load_2addr_b32 v[15:16], v62 offset1:243
	v_add_lshl_u32 v112, v12, v105, 2
	v_lshlrev_b32_e32 v111, 2, v109
	v_lshlrev_b32_e32 v110, 2, v106
	ds_load_2addr_b32 v[105:106], v97 offset0:6 offset1:249
	global_wb scope:SCOPE_SE
	s_wait_loadcnt_dscnt 0x0
	s_barrier_signal -1
	s_barrier_wait -1
	v_lshrrev_b32_e32 v12, 16, v107
	v_lshrrev_b32_e32 v109, 16, v21
	;; [unrolled: 1-line block ×11, first 2 shown]
	global_inv scope:SCOPE_SE
	v_lshrrev_b32_e32 v198, 16, v16
	v_lshrrev_b32_e32 v199, 16, v15
	;; [unrolled: 1-line block ×11, first 2 shown]
	v_mul_f16_e64 v204, v191, v121
	v_mul_f16_e64 v205, v192, v118
	;; [unrolled: 1-line block ×4, first 2 shown]
	v_lshrrev_b32_e32 v123, 16, v10
	v_mul_f16_e64 v200, v12, v114
	v_mul_f16_e64 v201, v109, v115
	v_mul_f16_e64 v206, v99, v121
	v_mul_f16_e64 v207, v100, v118
	v_mul_f16_e64 v210, v101, v122
	v_fma_f16 v99, v99, v11, -v204
	v_fma_f16 v100, v100, v7, -v205
	v_mul_f16_e64 v204, v102, v119
	v_mul_f16_e64 v205, v195, v116
	v_fma_f16 v101, v101, v6, -v208
	v_fma_f16 v102, v102, v8, -v209
	v_mul_f16_e64 v208, v196, v120
	v_mul_f16_e64 v209, v197, v117
	;; [unrolled: 1-line block ×4, first 2 shown]
	v_fma_f16 v21, v21, v2, -v201
	v_fma_f16 v201, v20, v4, -v205
	v_mul_f16_e64 v205, v103, v120
	v_fma_f16 v103, v103, v9, -v208
	v_fma_f16 v208, v104, v5, -v209
	v_mul_f16_e64 v209, v190, v123
	v_fma_f16 v107, v107, v3, -v200
	v_mul_f16_e32 v20, v20, v116
	v_mul_f16_e32 v104, v104, v117
	v_mul_f16_e64 v200, v14, v123
	v_fmac_f16_e64 v202, v12, v3
	v_fmac_f16_e64 v203, v109, v2
	v_fma_f16 v14, v14, v10, -v209
	v_add_f16_e32 v109, v21, v107
	v_fmac_f16_e64 v200, v190, v10
	v_fmac_f16_e64 v206, v191, v11
	;; [unrolled: 1-line block ×6, first 2 shown]
	v_add_f16_e64 v190, v13, v21
	v_add_f16_e64 v191, v203, v202
	;; [unrolled: 1-line block ×3, first 2 shown]
	v_fmac_f16_e32 v13, -0.5, v109
	v_add_f16_e32 v109, v15, v14
	v_lshrrev_b32_e32 v12, 16, v106
	v_fmac_f16_e64 v204, v194, v8
	v_add_f16_e64 v192, v189, v203
	v_add_f16_e64 v194, v16, v101
	;; [unrolled: 1-line block ×4, first 2 shown]
	v_fmac_f16_e64 v189, -0.5, v191
	v_add_f16_e64 v191, v201, v208
	v_fmac_f16_e64 v16, -0.5, v193
	v_add_f16_e64 v193, v20, v104
	v_sub_f16_e32 v14, v14, v99
	v_add_f16_e32 v99, v109, v99
	v_add_f16_e64 v109, v200, v206
	v_fmac_f16_e64 v205, v196, v9
	v_add_f16_e64 v196, v198, v210
	v_fmac_f16_e64 v198, -0.5, v195
	v_add_f16_e64 v195, v106, v201
	v_fmac_f16_e64 v106, -0.5, v191
	;; [unrolled: 2-line block ×4, first 2 shown]
	v_add_f16_e32 v109, v105, v102
	v_sub_f16_e64 v200, v200, v206
	v_sub_f16_e32 v101, v101, v100
	v_add_f16_e64 v193, v193, v206
	v_lshrrev_b32_e32 v206, 16, v105
	v_add_f16_e64 v100, v194, v100
	v_add_f16_e64 v194, v102, v103
	v_sub_f16_e32 v102, v102, v103
	v_add_f16_e32 v103, v109, v103
	v_add_f16_e64 v109, v204, v205
	v_sub_f16_e32 v20, v20, v104
	v_sub_f16_e64 v201, v201, v208
	v_fma_f16 v15, -0.5, v197, v15
	v_sub_f16_e64 v203, v203, v202
	v_sub_f16_e32 v21, v21, v107
	v_sub_f16_e64 v209, v210, v207
	v_add_f16_e64 v196, v196, v207
	v_add_f16_e64 v207, v206, v204
	v_sub_f16_e64 v204, v204, v205
	v_fma_f16 v105, -0.5, v194, v105
	v_fmac_f16_e64 v206, -0.5, v109
	v_add_f16_e64 v109, v195, v208
	v_fma_f16 v195, 0xbaee, v101, v198
	v_fmac_f16_e64 v198, 0x3aee, v101
	v_fmamk_f16 v101, v20, 0x3aee, v106
	v_fmac_f16_e32 v106, 0xbaee, v20
	v_fma_f16 v20, 0xbaee, v201, v12
	v_fmac_f16_e64 v12, 0x3aee, v201
	v_fma_f16 v197, 0x3aee, v200, v15
	v_fmac_f16_e64 v15, 0xbaee, v200
	;; [unrolled: 2-line block ×3, first 2 shown]
	v_add_f16_e64 v104, v191, v104
	v_add_f16_e64 v107, v190, v107
	;; [unrolled: 1-line block ×3, first 2 shown]
	v_fma_f16 v191, 0x3aee, v203, v13
	v_fmac_f16_e64 v13, 0xbaee, v203
	v_fma_f16 v192, 0xbaee, v21, v189
	v_fmac_f16_e64 v189, 0x3aee, v21
	;; [unrolled: 2-line block ×3, first 2 shown]
	v_fma_f16 v14, 0x3aee, v204, v105
	v_fma_f16 v201, 0xbaee, v102, v206
	v_add_f16_e64 v194, v207, v205
	v_fmac_f16_e64 v105, 0xbaee, v204
	v_fmac_f16_e64 v206, 0x3aee, v102
	v_pack_b32_f16 v99, v99, v193
	v_pack_b32_f16 v12, v106, v12
	;; [unrolled: 1-line block ×15, first 2 shown]
	ds_store_b32 v62, v99
	ds_store_b32 v62, v106 offset:1620
	ds_store_b32 v62, v15 offset:3240
	ds_store_b32 v112, v100
	ds_store_b32 v112, v21 offset:1620
	ds_store_b32 v112, v16 offset:3240
	;; [unrolled: 1-line block ×5, first 2 shown]
	ds_store_b32 v111, v103
	ds_store_b32 v111, v20 offset:1620
	ds_store_b32 v111, v12 offset:3240
	;; [unrolled: 1-line block ×5, first 2 shown]
	global_wb scope:SCOPE_SE
	s_wait_dscnt 0x0
	s_barrier_signal -1
	s_barrier_wait -1
	global_inv scope:SCOPE_SE
	s_clause 0x4
	global_load_b64 v[12:13], v108, s[6:7] offset:4840
	global_load_b64 v[14:15], v17, s[6:7] offset:4840
	;; [unrolled: 1-line block ×5, first 2 shown]
	ds_load_b32 v104, v62 offset:13608
	ds_load_2addr_b32 v[107:108], v98 offset0:8 offset1:251
	ds_load_2addr_b32 v[188:189], v94 offset0:12 offset1:255
	;; [unrolled: 1-line block ×4, first 2 shown]
	s_wait_dscnt 0x4
	v_lshrrev_b32_e32 v106, 16, v104
	s_wait_dscnt 0x3
	v_lshrrev_b32_e32 v109, 16, v108
	;; [unrolled: 2-line block ×3, first 2 shown]
	v_lshrrev_b32_e32 v195, 16, v189
	s_wait_dscnt 0x0
	v_lshrrev_b32_e32 v198, 16, v192
	v_lshrrev_b32_e32 v199, 16, v193
	;; [unrolled: 1-line block ×5, first 2 shown]
	s_wait_loadcnt 0x4
	v_lshrrev_b32_e32 v99, 16, v13
	v_lshrrev_b32_e32 v100, 16, v12
	s_wait_loadcnt 0x3
	v_lshrrev_b32_e32 v103, 16, v14
	s_wait_loadcnt 0x2
	v_lshrrev_b32_e32 v105, 16, v16
	v_lshrrev_b32_e32 v102, 16, v15
	v_mul_f16_e64 v201, v106, v99
	v_mul_f16_e64 v202, v109, v100
	;; [unrolled: 1-line block ×5, first 2 shown]
	v_fma_f16 v201, v104, v13, -v201
	v_fma_f16 v108, v108, v12, -v202
	v_fmac_f16_e64 v203, v106, v13
	v_fmac_f16_e64 v204, v109, v12
	s_wait_loadcnt 0x1
	v_lshrrev_b32_e32 v106, 16, v20
	s_wait_loadcnt 0x0
	v_lshrrev_b32_e32 v104, 16, v18
	v_add_f16_e64 v109, v108, v201
	v_add_f16_e64 v202, v188, v108
	;; [unrolled: 1-line block ×4, first 2 shown]
	v_sub_f16_e64 v204, v204, v203
	v_fmac_f16_e64 v188, -0.5, v109
	v_sub_f16_e64 v108, v108, v201
	v_fmac_f16_e64 v194, -0.5, v205
	v_mul_f16_e64 v109, v195, v103
	v_mul_f16_e64 v205, v189, v103
	v_fma_f16 v207, 0x3aee, v204, v188
	v_fmac_f16_e64 v188, 0xbaee, v204
	v_fma_f16 v204, 0xbaee, v108, v194
	v_fmac_f16_e64 v194, 0x3aee, v108
	v_fma_f16 v109, v189, v14, -v109
	v_mul_f16_e64 v189, v199, v106
	v_mul_f16_e64 v108, v196, v102
	;; [unrolled: 1-line block ×3, first 2 shown]
	v_pack_b32_f16 v194, v188, v194
	v_mul_f16_e64 v188, v198, v105
	v_fma_f16 v211, v193, v20, -v189
	v_fma_f16 v190, v190, v15, -v108
	v_mul_f16_e64 v108, v200, v104
	v_mul_f16_e64 v213, v107, v104
	v_fma_f16 v192, v192, v16, -v188
	ds_load_2addr_b32 v[188:189], v95 offset0:4 offset1:247
	v_lshrrev_b32_e32 v101, 16, v17
	v_fma_f16 v212, v107, v18, -v108
	v_lshrrev_b32_e32 v107, 16, v21
	v_fmac_f16_e64 v205, v195, v14
	v_fmac_f16_e64 v210, v198, v16
	v_mul_f16_e64 v208, v197, v101
	v_fmac_f16_e64 v209, v196, v15
	v_mul_f16_e64 v193, v193, v106
	v_fmac_f16_e64 v213, v200, v18
	v_add_f16_e64 v201, v202, v201
	v_fma_f16 v208, v191, v17, -v208
	v_mul_f16_e64 v191, v191, v101
	v_fmac_f16_e64 v193, v199, v20
	v_sub_f16_e64 v200, v205, v209
	v_add_f16_e64 v202, v206, v203
	v_add_f16_e64 v195, v192, v208
	v_fmac_f16_e64 v191, v197, v17
	s_wait_dscnt 0x0
	v_lshrrev_b32_e32 v214, 16, v188
	v_lshrrev_b32_e32 v216, 16, v189
	v_mul_f16_e64 v218, v188, v107
	v_pack_b32_f16 v201, v201, v202
	s_delay_alu instid0(VALU_DEP_4) | instskip(NEXT) | instid1(VALU_DEP_3)
	v_mul_f16_e64 v108, v214, v107
	v_fmac_f16_e64 v218, v214, v21
	s_delay_alu instid0(VALU_DEP_2) | instskip(SKIP_1) | instid1(VALU_DEP_2)
	v_fma_f16 v215, v188, v21, -v108
	v_lshrrev_b32_e32 v108, 16, v19
	v_add_f16_e64 v221, v211, v215
	s_delay_alu instid0(VALU_DEP_2) | instskip(SKIP_1) | instid1(VALU_DEP_2)
	v_mul_f16_e64 v217, v216, v108
	v_mul_f16_e64 v219, v189, v108
	v_fma_f16 v217, v189, v19, -v217
	ds_load_2addr_b32 v[188:189], v62 offset1:243
	v_fmac_f16_e64 v219, v216, v19
	v_add_f16_e64 v216, v193, v218
	s_wait_dscnt 0x0
	v_lshrrev_b32_e32 v196, 16, v189
	v_add_f16_e64 v197, v189, v192
	v_fmac_f16_e64 v189, -0.5, v195
	v_add_f16_e64 v195, v210, v191
	v_sub_f16_e64 v192, v192, v208
	v_add_f16_e64 v198, v196, v210
	v_add_f16_e64 v197, v197, v208
	s_delay_alu instid0(VALU_DEP_4) | instskip(SKIP_4) | instid1(VALU_DEP_4)
	v_fmac_f16_e64 v196, -0.5, v195
	v_sub_f16_e64 v195, v210, v191
	v_lshrrev_b32_e32 v210, 16, v188
	v_add_f16_e64 v191, v198, v191
	v_add_f16_e64 v198, v212, v217
	v_fma_f16 v199, 0x3aee, v195, v189
	v_fmac_f16_e64 v189, 0xbaee, v195
	v_fma_f16 v195, 0xbaee, v192, v196
	v_fmac_f16_e64 v196, 0x3aee, v192
	v_add_f16_e64 v192, v109, v190
	v_pack_b32_f16 v191, v197, v191
	s_delay_alu instid0(VALU_DEP_4) | instskip(NEXT) | instid1(VALU_DEP_4)
	v_pack_b32_f16 v195, v199, v195
	v_pack_b32_f16 v196, v189, v196
	s_delay_alu instid0(VALU_DEP_4) | instskip(SKIP_3) | instid1(VALU_DEP_4)
	v_fma_f16 v192, -0.5, v192, v188
	v_add_f16_e64 v188, v188, v109
	v_sub_f16_e64 v109, v109, v190
	v_add_f16_e64 v189, v210, v205
	v_fma_f16 v203, 0x3aee, v200, v192
	s_delay_alu instid0(VALU_DEP_4) | instskip(SKIP_1) | instid1(VALU_DEP_4)
	v_add_f16_e64 v190, v188, v190
	v_add_f16_e64 v188, v205, v209
	;; [unrolled: 1-line block ×3, first 2 shown]
	v_fmac_f16_e64 v192, 0xbaee, v200
	s_delay_alu instid0(VALU_DEP_3)
	v_fmac_f16_e64 v210, -0.5, v188
	ds_load_2addr_b32 v[188:189], v97 offset0:6 offset1:249
	v_pack_b32_f16 v190, v190, v205
	v_fma_f16 v200, 0xbaee, v109, v210
	v_fmac_f16_e64 v210, 0x3aee, v109
	v_add_nc_u32_e32 v109, 0x29c0, v62
	s_delay_alu instid0(VALU_DEP_3) | instskip(NEXT) | instid1(VALU_DEP_3)
	v_pack_b32_f16 v200, v203, v200
	v_pack_b32_f16 v192, v192, v210
	s_wait_dscnt 0x0
	v_lshrrev_b32_e32 v208, 16, v189
	v_add_f16_e64 v209, v189, v212
	v_fmac_f16_e64 v189, -0.5, v198
	v_add_f16_e64 v198, v213, v219
	v_sub_f16_e64 v212, v212, v217
	v_add_f16_e64 v214, v208, v213
	v_sub_f16_e64 v213, v213, v219
	v_add_f16_e64 v209, v209, v217
	v_fmac_f16_e64 v208, -0.5, v198
	v_lshrrev_b32_e32 v198, 16, v188
	v_add_f16_e64 v214, v214, v219
	v_fma_f16 v197, 0x3aee, v213, v189
	v_fmac_f16_e64 v189, 0xbaee, v213
	v_fma_f16 v205, 0xbaee, v212, v208
	v_add_f16_e64 v220, v198, v193
	v_fmac_f16_e64 v198, -0.5, v216
	v_add_f16_e64 v216, v188, v211
	v_sub_f16_e64 v211, v211, v215
	v_sub_f16_e64 v193, v193, v218
	v_fma_f16 v188, -0.5, v221, v188
	v_fmac_f16_e64 v208, 0x3aee, v212
	v_add_f16_e64 v215, v216, v215
	v_add_f16_e64 v216, v220, v218
	v_pack_b32_f16 v209, v209, v214
	v_fma_f16 v206, 0x3aee, v193, v188
	v_fmac_f16_e64 v188, 0xbaee, v193
	v_fma_f16 v193, 0xbaee, v211, v198
	v_fmac_f16_e64 v198, 0x3aee, v211
	v_pack_b32_f16 v211, v215, v216
	v_pack_b32_f16 v189, v189, v208
	;; [unrolled: 1-line block ×6, first 2 shown]
	ds_store_b32 v62, v200 offset:4860
	ds_store_b32 v62, v192 offset:9720
	ds_store_2addr_b32 v62, v190, v191 offset1:243
	ds_store_2addr_b32 v96, v195, v193 offset0:2 offset1:245
	ds_store_2addr_b32 v109, v196, v188 offset0:1 offset1:244
	;; [unrolled: 1-line block ×3, first 2 shown]
	ds_store_b32 v62, v189 offset:12636
	ds_store_b32 v62, v201 offset:3888
	ds_store_2addr_b32 v98, v197, v198 offset0:8 offset1:251
	ds_store_b32 v62, v194 offset:13608
	global_wb scope:SCOPE_SE
	s_wait_dscnt 0x0
	s_barrier_signal -1
	s_barrier_wait -1
	global_inv scope:SCOPE_SE
	s_clause 0x8
	global_load_b32 v190, v62, s[4:5] offset:14580
	global_load_b32 v194, v62, s[2:3] offset:972
	;; [unrolled: 1-line block ×9, first 2 shown]
	ds_load_2addr_b32 v[188:189], v62 offset1:243
	ds_load_b32 v202, v62 offset:13608
	global_load_b32 v204, v62, s[2:3] offset:12636
	s_wait_dscnt 0x1
	v_lshrrev_b32_e32 v192, 16, v188
	s_wait_dscnt 0x0
	v_lshrrev_b32_e32 v205, 16, v202
	s_wait_loadcnt 0x8
	v_lshrrev_b32_e32 v203, 16, v194
	s_wait_loadcnt 0x7
	v_lshrrev_b32_e32 v206, 16, v195
	s_wait_loadcnt 0x6
	v_lshrrev_b32_e32 v208, 16, v196
	s_wait_loadcnt 0x5
	v_lshrrev_b32_e32 v211, 16, v197
	v_lshrrev_b32_e32 v191, 16, v190
	v_mul_f16_e64 v209, v205, v206
	s_wait_loadcnt 0x1
	v_lshrrev_b32_e32 v210, 16, v201
	v_mul_f16_e64 v206, v202, v206
	v_mul_f16_e64 v193, v188, v191
	;; [unrolled: 1-line block ×3, first 2 shown]
	s_delay_alu instid0(VALU_DEP_3) | instskip(NEXT) | instid1(VALU_DEP_3)
	v_fmac_f16_e64 v206, v205, v195
	v_fmac_f16_e64 v193, v192, v190
	s_delay_alu instid0(VALU_DEP_3) | instskip(NEXT) | instid1(VALU_DEP_1)
	v_fma_f16 v188, v188, v190, -v191
	v_pack_b32_f16 v188, v188, v193
	ds_store_b32 v62, v188
	ds_load_2addr_b32 v[190:191], v97 offset0:6 offset1:249
	v_lshrrev_b32_e32 v188, 16, v189
	ds_load_2addr_b32 v[192:193], v94 offset0:12 offset1:255
	v_mul_f16_e64 v207, v188, v203
	v_mul_f16_e64 v203, v189, v203
	s_delay_alu instid0(VALU_DEP_2) | instskip(NEXT) | instid1(VALU_DEP_2)
	v_fma_f16 v207, v189, v194, -v207
	v_fmac_f16_e64 v203, v188, v194
	v_fma_f16 v194, v202, v195, -v209
	s_delay_alu instid0(VALU_DEP_2) | instskip(NEXT) | instid1(VALU_DEP_2)
	v_pack_b32_f16 v203, v207, v203
	v_pack_b32_f16 v194, v194, v206
	v_add_nc_u32_e32 v206, 0x12e0, v62
	s_wait_dscnt 0x1
	v_lshrrev_b32_e32 v188, 16, v191
	v_mul_f16_e64 v202, v191, v208
	v_lshrrev_b32_e32 v209, 16, v190
	v_mul_f16_e64 v205, v190, v210
	s_delay_alu instid0(VALU_DEP_4) | instskip(NEXT) | instid1(VALU_DEP_4)
	v_mul_f16_e64 v208, v188, v208
	v_fmac_f16_e64 v202, v188, v196
	s_delay_alu instid0(VALU_DEP_4)
	v_mul_f16_e64 v195, v209, v210
	ds_load_2addr_b32 v[188:189], v96 offset0:2 offset1:245
	v_fmac_f16_e64 v205, v209, v201
	v_fma_f16 v191, v191, v196, -v208
	s_wait_dscnt 0x1
	v_lshrrev_b32_e32 v196, 16, v192
	v_fma_f16 v190, v190, v201, -v195
	v_mul_f16_e64 v195, v192, v211
	v_lshrrev_b32_e32 v208, 16, v198
	v_lshrrev_b32_e32 v209, 16, v199
	v_mul_f16_e64 v210, v196, v211
	v_pack_b32_f16 v191, v191, v202
	v_fmac_f16_e64 v195, v196, v197
	v_lshrrev_b32_e32 v196, 16, v193
	v_add_nc_u32_e32 v202, 0x2200, v62
	v_fma_f16 v192, v192, v197, -v210
	v_lshrrev_b32_e32 v197, 16, v200
	v_pack_b32_f16 v190, v190, v205
	v_mul_f16_e64 v201, v196, v208
	v_mul_f16_e64 v208, v193, v208
	v_pack_b32_f16 v192, v192, v195
	v_add_nc_u32_e32 v205, 0x3c0, v62
	s_wait_dscnt 0x0
	v_mul_f16_e64 v210, v188, v209
	v_fma_f16 v193, v193, v198, -v201
	v_lshrrev_b32_e32 v201, 16, v188
	v_fmac_f16_e64 v208, v196, v198
	global_load_b32 v198, v62, s[2:3] offset:8748
	v_lshrrev_b32_e32 v196, 16, v189
	v_mul_f16_e64 v209, v201, v209
	v_fmac_f16_e64 v210, v201, v199
	v_pack_b32_f16 v193, v193, v208
	s_delay_alu instid0(VALU_DEP_4)
	v_mul_f16_e64 v201, v196, v197
	v_mul_f16_e64 v197, v189, v197
	v_fma_f16 v199, v188, v199, -v209
	s_clause 0x2
	global_load_b32 v209, v62, s[2:3] offset:9720
	global_load_b32 v211, v62, s[2:3] offset:10692
	;; [unrolled: 1-line block ×3, first 2 shown]
	v_fma_f16 v201, v189, v200, -v201
	ds_load_2addr_b32 v[188:189], v98 offset0:8 offset1:251
	v_fmac_f16_e64 v197, v196, v200
	v_pack_b32_f16 v199, v199, v210
	s_delay_alu instid0(VALU_DEP_2) | instskip(SKIP_4) | instid1(VALU_DEP_1)
	v_pack_b32_f16 v197, v201, v197
	s_wait_dscnt 0x0
	v_lshrrev_b32_e32 v200, 16, v189
	s_wait_loadcnt 0x3
	v_lshrrev_b32_e32 v196, 16, v198
	v_mul_f16_e64 v213, v189, v196
	s_delay_alu instid0(VALU_DEP_3) | instskip(NEXT) | instid1(VALU_DEP_2)
	v_mul_f16_e64 v196, v200, v196
	v_fmac_f16_e64 v213, v200, v198
	s_delay_alu instid0(VALU_DEP_2) | instskip(SKIP_3) | instid1(VALU_DEP_3)
	v_fma_f16 v196, v189, v198, -v196
	s_wait_loadcnt 0x0
	v_lshrrev_b32_e32 v189, 16, v212
	v_lshrrev_b32_e32 v198, 16, v188
	v_pack_b32_f16 v195, v196, v213
	s_delay_alu instid0(VALU_DEP_3) | instskip(NEXT) | instid1(VALU_DEP_3)
	v_mul_f16_e64 v214, v188, v189
	v_mul_f16_e64 v200, v198, v189
	v_add_nc_u32_e32 v196, 0xb40, v62
	s_delay_alu instid0(VALU_DEP_3)
	v_fmac_f16_e64 v214, v198, v212
	global_load_b32 v198, v62, s[2:3] offset:11664
	v_fma_f16 v200, v188, v212, -v200
	ds_load_2addr_b32 v[188:189], v95 offset0:4 offset1:247
	v_lshrrev_b32_e32 v212, 16, v204
	v_pack_b32_f16 v200, v200, v214
	s_wait_dscnt 0x0
	v_lshrrev_b32_e32 v215, 16, v189
	s_delay_alu instid0(VALU_DEP_3) | instskip(NEXT) | instid1(VALU_DEP_2)
	v_mul_f16_e64 v216, v189, v212
	v_mul_f16_e64 v212, v215, v212
	s_delay_alu instid0(VALU_DEP_2) | instskip(NEXT) | instid1(VALU_DEP_2)
	v_fmac_f16_e64 v216, v215, v204
	v_fma_f16 v204, v189, v204, -v212
	v_lshrrev_b32_e32 v212, 16, v188
	s_delay_alu instid0(VALU_DEP_2) | instskip(SKIP_2) | instid1(VALU_DEP_1)
	v_pack_b32_f16 v201, v204, v216
	s_wait_loadcnt 0x0
	v_lshrrev_b32_e32 v189, 16, v198
	v_mul_f16_e64 v215, v212, v189
	v_mul_f16_e64 v217, v188, v189
	s_delay_alu instid0(VALU_DEP_2) | instskip(SKIP_3) | instid1(VALU_DEP_2)
	v_fma_f16 v215, v188, v198, -v215
	ds_load_2addr_b32 v[188:189], v85 offset0:6 offset1:249
	v_fmac_f16_e64 v217, v212, v198
	v_lshrrev_b32_e32 v198, 16, v209
	v_pack_b32_f16 v204, v215, v217
	s_wait_dscnt 0x0
	v_lshrrev_b32_e32 v212, 16, v188
	s_delay_alu instid0(VALU_DEP_3) | instskip(NEXT) | instid1(VALU_DEP_2)
	v_mul_f16_e64 v218, v188, v198
	v_mul_f16_e64 v198, v212, v198
	s_delay_alu instid0(VALU_DEP_2) | instskip(NEXT) | instid1(VALU_DEP_2)
	v_fmac_f16_e64 v218, v212, v209
	v_fma_f16 v188, v188, v209, -v198
	v_lshrrev_b32_e32 v198, 16, v211
	v_lshrrev_b32_e32 v209, 16, v189
	s_delay_alu instid0(VALU_DEP_3) | instskip(NEXT) | instid1(VALU_DEP_2)
	v_pack_b32_f16 v188, v188, v218
	v_mul_f16_e64 v212, v209, v198
	v_mul_f16_e64 v198, v189, v198
	s_delay_alu instid0(VALU_DEP_2) | instskip(NEXT) | instid1(VALU_DEP_2)
	v_fma_f16 v189, v189, v211, -v212
	v_fmac_f16_e64 v198, v209, v211
	s_delay_alu instid0(VALU_DEP_1)
	v_pack_b32_f16 v189, v189, v198
	ds_store_2addr_b32 v196, v191, v192 offset0:9 offset1:252
	ds_store_2addr_b32 v202, v195, v188 offset0:11 offset1:254
	;; [unrolled: 1-line block ×7, first 2 shown]
	global_wb scope:SCOPE_SE
	s_wait_dscnt 0x0
	s_barrier_signal -1
	s_barrier_wait -1
	global_inv scope:SCOPE_SE
	ds_load_2addr_b32 v[186:187], v96 offset0:2 offset1:245
	ds_load_2addr_b32 v[188:189], v97 offset0:6 offset1:249
	;; [unrolled: 1-line block ×3, first 2 shown]
	ds_load_2addr_b32 v[192:193], v62 offset1:243
	ds_load_2addr_b32 v[194:195], v95 offset0:4 offset1:247
	ds_load_2addr_b32 v[196:197], v85 offset0:6 offset1:249
	;; [unrolled: 1-line block ×3, first 2 shown]
	ds_load_b32 v200, v62 offset:13608
	global_wb scope:SCOPE_SE
	s_wait_dscnt 0x0
	s_barrier_signal -1
	s_barrier_wait -1
	global_inv scope:SCOPE_SE
	v_pk_add_f16 v201, v189, v186 neg_lo:[0,1] neg_hi:[0,1]
	v_pk_add_f16 v202, v186, v191
	v_pk_add_f16 v204, v192, v189
	;; [unrolled: 1-line block ×6, first 2 shown]
	v_pk_add_f16 v203, v186, v191 neg_lo:[0,1] neg_hi:[0,1]
	v_pk_add_f16 v206, v186, v189 neg_lo:[0,1] neg_hi:[0,1]
	;; [unrolled: 1-line block ×3, first 2 shown]
	v_pk_fma_f16 v202, v202, 0.5, v192 op_sel_hi:[1,0,1] neg_lo:[1,0,0] neg_hi:[1,0,0]
	v_pk_fma_f16 v192, v205, 0.5, v192 op_sel_hi:[1,0,1] neg_lo:[1,0,0] neg_hi:[1,0,0]
	;; [unrolled: 1-line block ×4, first 2 shown]
	v_pk_add_f16 v207, v187, v196 neg_lo:[0,1] neg_hi:[0,1]
	v_pk_add_f16 v208, v187, v198 neg_lo:[0,1] neg_hi:[0,1]
	v_pk_add_f16 v186, v204, v186
	v_pk_add_f16 v187, v209, v187
	;; [unrolled: 1-line block ×4, first 2 shown]
	v_pk_add_f16 v189, v189, v194 neg_lo:[0,1] neg_hi:[0,1]
	v_pk_add_f16 v186, v186, v191
	v_pk_add_f16 v187, v187, v196
	v_pk_fma_f16 v204, v204, 0.5, v188 op_sel_hi:[1,0,1] neg_lo:[1,0,0] neg_hi:[1,0,0]
	v_pk_fma_f16 v209, v209, 0.5, v188 op_sel_hi:[1,0,1] neg_lo:[1,0,0] neg_hi:[1,0,0]
	v_pk_add_f16 v188, v188, v199
	v_pk_add_f16 v186, v186, v194
	v_pk_add_f16 v211, v194, v191 neg_lo:[0,1] neg_hi:[0,1]
	v_pk_add_f16 v191, v191, v194 neg_lo:[0,1] neg_hi:[0,1]
	v_pk_add_f16 v194, v195, v196 neg_lo:[0,1] neg_hi:[0,1]
	v_pk_add_f16 v188, v188, v190
	v_pk_add_f16 v187, v187, v195
	v_pk_add_f16 v198, v198, v195 neg_lo:[0,1] neg_hi:[0,1]
	v_pk_add_f16 v195, v196, v195 neg_lo:[0,1] neg_hi:[0,1]
	;; [unrolled: 1-line block ×6, first 2 shown]
	v_pk_add_f16 v188, v188, v197
	v_pk_add_f16 v213, v200, v197 neg_lo:[0,1] neg_hi:[0,1]
	v_pk_add_f16 v197, v197, v200 neg_lo:[0,1] neg_hi:[0,1]
	v_pk_add_f16 v191, v206, v191
	v_pk_add_f16 v194, v210, v194
	v_pk_mul_f16 v206, 0x3b9c, v189 op_sel_hi:[0,1]
	v_pk_mul_f16 v210, 0x3b9c, v203 op_sel_hi:[0,1]
	v_pk_add_f16 v197, v199, v197
	v_pk_add_f16 v201, v201, v211
	;; [unrolled: 1-line block ×3, first 2 shown]
	v_pk_add_f16 v199, v202, v206 op_sel:[0,1] op_sel_hi:[1,0] neg_lo:[0,1] neg_hi:[0,1]
	v_pk_add_f16 v202, v202, v206 op_sel:[0,1] op_sel_hi:[1,0]
	v_pk_add_f16 v206, v192, v210 op_sel:[0,1] op_sel_hi:[1,0]
	v_pk_add_f16 v192, v192, v210 op_sel:[0,1] op_sel_hi:[1,0] neg_lo:[0,1] neg_hi:[0,1]
	v_pk_mul_f16 v210, 0x3b9c, v198 op_sel_hi:[0,1]
	v_pk_add_f16 v208, v212, v213
	v_pk_mul_f16 v203, 0x38b4, v203 op_sel_hi:[0,1]
	v_pk_mul_f16 v189, 0x38b4, v189 op_sel_hi:[0,1]
	v_pk_mul_f16 v198, 0x38b4, v198 op_sel_hi:[0,1]
	v_pk_add_f16 v211, v205, v210 op_sel:[0,1] op_sel_hi:[1,0] neg_lo:[0,1] neg_hi:[0,1]
	v_pk_add_f16 v205, v205, v210 op_sel:[0,1] op_sel_hi:[1,0]
	v_pk_mul_f16 v210, 0x3b9c, v207 op_sel_hi:[0,1]
	v_pk_add_f16 v199, v199, v203 op_sel:[0,1] op_sel_hi:[1,0] neg_lo:[0,1] neg_hi:[0,1]
	v_pk_add_f16 v202, v202, v203 op_sel:[0,1] op_sel_hi:[1,0]
	v_pk_add_f16 v203, v206, v189 op_sel:[0,1] op_sel_hi:[1,0] neg_lo:[0,1] neg_hi:[0,1]
	v_pk_add_f16 v189, v192, v189 op_sel:[0,1] op_sel_hi:[1,0]
	v_pk_add_f16 v212, v193, v210 op_sel:[0,1] op_sel_hi:[1,0]
	v_pk_add_f16 v193, v193, v210 op_sel:[0,1] op_sel_hi:[1,0] neg_lo:[0,1] neg_hi:[0,1]
	v_pk_mul_f16 v210, 0x3b9c, v196 op_sel_hi:[0,1]
	v_pk_mul_f16 v192, 0x38b4, v207 op_sel_hi:[0,1]
	;; [unrolled: 1-line block ×3, first 2 shown]
	v_pk_add_f16 v188, v188, v200
	v_pk_add_f16 v193, v193, v198 op_sel:[0,1] op_sel_hi:[1,0]
	v_pk_add_f16 v213, v204, v210 op_sel:[0,1] op_sel_hi:[1,0] neg_lo:[0,1] neg_hi:[0,1]
	v_pk_add_f16 v204, v204, v210 op_sel:[0,1] op_sel_hi:[1,0]
	v_pk_mul_f16 v210, 0x3b9c, v190 op_sel_hi:[0,1]
	v_pk_mul_f16 v190, 0x38b4, v190 op_sel_hi:[0,1]
	v_pk_add_f16 v206, v211, v192 op_sel:[0,1] op_sel_hi:[1,0] neg_lo:[0,1] neg_hi:[0,1]
	v_pk_add_f16 v192, v205, v192 op_sel:[0,1] op_sel_hi:[1,0]
	v_pk_add_f16 v205, v212, v198 op_sel:[0,1] op_sel_hi:[1,0] neg_lo:[0,1] neg_hi:[0,1]
	v_pk_add_f16 v214, v209, v210 op_sel:[0,1] op_sel_hi:[1,0]
	v_pk_add_f16 v209, v209, v210 op_sel:[0,1] op_sel_hi:[1,0] neg_lo:[0,1] neg_hi:[0,1]
	v_pk_add_f16 v198, v213, v190 op_sel:[0,1] op_sel_hi:[1,0] neg_lo:[0,1] neg_hi:[0,1]
	v_pk_add_f16 v190, v204, v190 op_sel:[0,1] op_sel_hi:[1,0]
	v_bfi_b32 v204, 0xffff, v199, v202
	v_pk_add_f16 v200, v214, v196 op_sel:[0,1] op_sel_hi:[1,0] neg_lo:[0,1] neg_hi:[0,1]
	v_pk_add_f16 v196, v209, v196 op_sel:[0,1] op_sel_hi:[1,0]
	v_bfi_b32 v207, 0xffff, v203, v189
	v_bfi_b32 v189, 0xffff, v189, v203
	;; [unrolled: 1-line block ×11, first 2 shown]
	v_pk_fma_f16 v198, 0x34f2, v201, v204 op_sel_hi:[0,1,1]
	v_pk_fma_f16 v200, 0x34f2, v191, v207 op_sel_hi:[0,1,1]
	;; [unrolled: 1-line block ×12, first 2 shown]
	ds_store_2addr_b32 v183, v186, v198 offset1:1
	ds_store_2addr_b32 v183, v200, v189 offset0:2 offset1:3
	ds_store_b32 v183, v191 offset:16
	ds_store_2addr_b32 v185, v187, v199 offset1:1
	ds_store_2addr_b32 v185, v201, v193 offset0:2 offset1:3
	ds_store_b32 v185, v192 offset:16
	;; [unrolled: 3-line block ×3, first 2 shown]
	global_wb scope:SCOPE_SE
	s_wait_dscnt 0x0
	s_barrier_signal -1
	s_barrier_wait -1
	global_inv scope:SCOPE_SE
	ds_load_2addr_b32 v[183:184], v98 offset0:8 offset1:251
	ds_load_b32 v197, v62 offset:13608
	ds_load_2addr_b32 v[185:186], v95 offset0:4 offset1:247
	ds_load_2addr_b32 v[187:188], v96 offset0:2 offset1:245
	;; [unrolled: 1-line block ×4, first 2 shown]
	ds_load_2addr_b32 v[193:194], v62 offset1:243
	ds_load_2addr_b32 v[195:196], v97 offset0:6 offset1:249
	global_wb scope:SCOPE_SE
	s_wait_dscnt 0x0
	s_barrier_signal -1
	s_barrier_wait -1
	global_inv scope:SCOPE_SE
	v_lshrrev_b32_e32 v198, 16, v184
	v_lshrrev_b32_e32 v200, 16, v197
	v_mul_f16_e64 v199, v181, v184
	v_mul_f16_e64 v201, v182, v197
	v_lshrrev_b32_e32 v202, 16, v183
	v_mul_f16_e64 v203, v180, v183
	v_mul_f16_e64 v181, v181, v198
	;; [unrolled: 1-line block ×3, first 2 shown]
	v_lshrrev_b32_e32 v204, 16, v186
	v_mul_f16_e64 v205, v179, v186
	v_lshrrev_b32_e32 v210, 16, v187
	v_fma_f16 v198, v60, v198, -v199
	v_mul_f16_e64 v199, v176, v187
	v_fma_f16 v200, v61, v200, -v201
	v_lshrrev_b32_e32 v201, 16, v190
	v_fmac_f16_e64 v182, v61, v197
	v_mul_f16_e64 v61, v175, v190
	v_fmac_f16_e64 v181, v60, v184
	v_lshrrev_b32_e32 v60, 16, v189
	v_mul_f16_e64 v180, v180, v202
	v_fma_f16 v197, v58, v202, -v203
	v_lshrrev_b32_e32 v202, 16, v192
	v_lshrrev_b32_e32 v206, 16, v185
	v_mul_f16_e64 v207, v177, v185
	v_lshrrev_b32_e32 v208, 16, v188
	v_mul_f16_e64 v209, v178, v188
	v_mul_f16_e64 v184, v173, v189
	;; [unrolled: 1-line block ×3, first 2 shown]
	v_fma_f16 v203, v59, v204, -v205
	v_mul_f16_e64 v204, v174, v192
	v_mul_f16_e64 v176, v176, v210
	v_fma_f16 v199, v54, v210, -v199
	v_mul_f16_e64 v175, v175, v201
	v_fma_f16 v61, v55, v201, -v61
	v_mul_f16_e64 v174, v174, v202
	v_mul_f16_e64 v173, v173, v60
	;; [unrolled: 1-line block ×3, first 2 shown]
	v_fma_f16 v205, v56, v208, -v209
	v_mul_f16_e64 v177, v177, v206
	v_fma_f16 v206, v57, v206, -v207
	v_lshrrev_b32_e32 v207, 16, v194
	v_lshrrev_b32_e32 v209, 16, v193
	v_fma_f16 v202, v52, v202, -v204
	v_fma_f16 v60, v53, v60, -v184
	v_lshrrev_b32_e32 v208, 16, v191
	v_lshrrev_b32_e32 v201, 16, v196
	v_fmac_f16_e64 v176, v54, v187
	v_fmac_f16_e64 v175, v55, v190
	;; [unrolled: 1-line block ×4, first 2 shown]
	v_add_f16_e64 v55, v199, v61
	v_add_f16_e64 v52, v198, v200
	v_lshrrev_b32_e32 v204, 16, v195
	v_fmac_f16_e64 v180, v58, v183
	v_fmac_f16_e64 v179, v59, v186
	;; [unrolled: 1-line block ×4, first 2 shown]
	v_add_f16_e64 v56, v207, v199
	v_add_f16_e64 v58, v202, v60
	;; [unrolled: 1-line block ×5, first 2 shown]
	v_sub_f16_e64 v54, v198, v200
	v_add_f16_e64 v185, v201, v197
	v_sub_f16_e64 v186, v197, v203
	v_fmac_f16_e64 v207, -0.5, v55
	v_add_f16_e64 v55, v176, v175
	v_add_f16_e64 v192, v194, v176
	v_sub_f16_e64 v176, v176, v175
	v_add_f16_e64 v197, v174, v173
	v_add_f16_e64 v198, v193, v174
	v_fmac_f16_e64 v208, -0.5, v52
	v_add_f16_e64 v52, v181, v182
	v_sub_f16_e64 v57, v199, v61
	v_sub_f16_e64 v183, v202, v60
	v_add_f16_e64 v187, v205, v206
	v_add_f16_e64 v188, v204, v205
	v_fmac_f16_e64 v209, -0.5, v58
	v_add_f16_e32 v58, v59, v60
	v_add_f16_e32 v56, v56, v61
	v_fmac_f16_e64 v201, -0.5, v184
	v_add_f16_e64 v59, v180, v179
	v_add_f16_e64 v60, v196, v180
	v_sub_f16_e64 v61, v180, v179
	v_add_f16_e64 v180, v178, v177
	v_add_f16_e64 v184, v195, v178
	v_sub_f16_e64 v174, v174, v173
	v_fmac_f16_e64 v194, -0.5, v55
	v_fma_f16 v55, 0x3aee, v176, v207
	v_fmac_f16_e64 v207, 0xbaee, v176
	v_fma_f16 v176, -0.5, v197, v193
	v_add_f16_e64 v173, v198, v173
	v_add_f16_e64 v190, v191, v181
	v_fmac_f16_e64 v191, -0.5, v52
	v_sub_f16_e64 v189, v205, v206
	v_sub_f16_e64 v181, v181, v182
	v_fmac_f16_e64 v204, -0.5, v187
	v_add_f16_e64 v187, v188, v206
	v_sub_f16_e64 v178, v178, v177
	v_fmac_f16_e64 v196, -0.5, v59
	v_fma_f16 v59, 0x3aee, v61, v201
	v_fmac_f16_e64 v201, 0xbaee, v61
	v_fma_f16 v61, -0.5, v180, v195
	v_fma_f16 v180, 0x3aee, v174, v209
	v_fmac_f16_e64 v209, 0xbaee, v174
	v_add_f16_e64 v174, v192, v175
	v_add_f16_e64 v175, v184, v177
	v_pack_b32_f16 v58, v173, v58
	v_fma_f16 v173, 0xbaee, v183, v176
	v_fmac_f16_e64 v176, 0x3aee, v183
	v_add_f16_e64 v60, v60, v179
	v_fma_f16 v179, 0xbaee, v54, v191
	v_fmac_f16_e64 v191, 0x3aee, v54
	v_fma_f16 v54, 0xbaee, v57, v194
	v_fmac_f16_e64 v194, 0x3aee, v57
	v_add_f16_e64 v185, v185, v203
	v_add_f16_e64 v53, v53, v200
	v_fma_f16 v52, 0x3aee, v181, v208
	v_fma_f16 v177, 0x3aee, v178, v204
	v_fmac_f16_e64 v204, 0xbaee, v178
	v_add_f16_e64 v178, v190, v182
	v_fma_f16 v57, 0xbaee, v186, v196
	v_pack_b32_f16 v56, v174, v56
	v_pack_b32_f16 v174, v175, v187
	v_fma_f16 v175, 0xbaee, v189, v61
	v_fmac_f16_e64 v61, 0x3aee, v189
	v_fmac_f16_e64 v208, 0xbaee, v181
	;; [unrolled: 1-line block ×3, first 2 shown]
	v_pack_b32_f16 v173, v173, v180
	v_pack_b32_f16 v176, v176, v209
	;; [unrolled: 1-line block ×12, first 2 shown]
	ds_store_2addr_b32 v168, v58, v173 offset1:5
	ds_store_b32 v168, v176 offset:40
	ds_store_2addr_b32 v172, v56, v54 offset1:5
	ds_store_b32 v172, v181 offset:40
	;; [unrolled: 2-line block ×5, first 2 shown]
	global_wb scope:SCOPE_SE
	s_wait_dscnt 0x0
	s_barrier_signal -1
	s_barrier_wait -1
	global_inv scope:SCOPE_SE
	ds_load_2addr_b32 v[52:53], v98 offset0:8 offset1:251
	ds_load_b32 v172, v62 offset:13608
	ds_load_2addr_b32 v[54:55], v95 offset0:4 offset1:247
	ds_load_2addr_b32 v[56:57], v96 offset0:2 offset1:245
	;; [unrolled: 1-line block ×4, first 2 shown]
	ds_load_2addr_b32 v[168:169], v62 offset1:243
	ds_load_2addr_b32 v[170:171], v97 offset0:6 offset1:249
	global_wb scope:SCOPE_SE
	s_wait_dscnt 0x0
	s_barrier_signal -1
	s_barrier_wait -1
	global_inv scope:SCOPE_SE
	v_lshrrev_b32_e32 v173, 16, v53
	v_mul_f16_e64 v174, v165, v53
	v_lshrrev_b32_e32 v175, 16, v172
	v_mul_f16_e64 v176, v163, v172
	;; [unrolled: 2-line block ×5, first 2 shown]
	v_lshrrev_b32_e32 v183, 16, v57
	v_lshrrev_b32_e32 v185, 16, v56
	v_mul_f16_e64 v186, v161, v56
	v_lshrrev_b32_e32 v187, 16, v59
	v_mul_f16_e64 v188, v160, v59
	;; [unrolled: 2-line block ×4, first 2 shown]
	v_mul_f16_e64 v184, v162, v57
	v_mul_f16_e64 v165, v165, v173
	v_fma_f16 v173, v46, v173, -v174
	v_mul_f16_e64 v163, v163, v175
	v_fma_f16 v174, v47, v175, -v176
	v_fma_f16 v175, v50, v177, -v178
	v_mul_f16_e64 v167, v167, v179
	v_fma_f16 v176, v51, v179, -v180
	v_mul_f16_e64 v164, v164, v181
	v_mul_f16_e64 v162, v162, v183
	v_fma_f16 v178, v49, v181, -v182
	v_mul_f16_e64 v161, v161, v185
	v_fma_f16 v179, v44, v185, -v186
	;; [unrolled: 2-line block ×6, first 2 shown]
	v_lshrrev_b32_e32 v193, 16, v60
	v_lshrrev_b32_e32 v194, 16, v169
	v_lshrrev_b32_e32 v195, 16, v168
	v_fmac_f16_e64 v163, v47, v172
	v_fmac_f16_e64 v165, v46, v53
	;; [unrolled: 1-line block ×7, first 2 shown]
	v_add_f16_e64 v42, v173, v174
	v_add_f16_e64 v45, v179, v180
	;; [unrolled: 1-line block ×3, first 2 shown]
	v_lshrrev_b32_e32 v196, 16, v171
	v_lshrrev_b32_e32 v197, 16, v170
	v_fmac_f16_e64 v166, v50, v52
	v_fmac_f16_e64 v167, v51, v55
	;; [unrolled: 1-line block ×3, first 2 shown]
	v_add_f16_e64 v51, v175, v176
	v_add_f16_e64 v54, v177, v178
	;; [unrolled: 1-line block ×5, first 2 shown]
	v_fmac_f16_e64 v193, -0.5, v42
	v_add_f16_e64 v42, v165, v163
	v_sub_f16_e64 v58, v165, v163
	v_fmac_f16_e64 v194, -0.5, v45
	v_add_f16_e64 v45, v161, v160
	v_fmac_f16_e64 v195, -0.5, v48
	v_add_f16_e64 v48, v169, v161
	v_sub_f16_e64 v59, v161, v160
	v_add_f16_e64 v61, v159, v158
	v_add_f16_e64 v161, v168, v159
	;; [unrolled: 1-line block ×5, first 2 shown]
	v_fmac_f16_e64 v196, -0.5, v51
	v_add_f16_e64 v51, v166, v167
	v_fmac_f16_e64 v197, -0.5, v54
	v_add_f16_e64 v54, v171, v166
	v_sub_f16_e64 v165, v166, v167
	v_add_f16_e64 v166, v162, v164
	v_sub_f16_e64 v44, v173, v174
	v_sub_f16_e64 v47, v179, v180
	;; [unrolled: 1-line block ×3, first 2 shown]
	v_add_f16_e64 v49, v49, v182
	v_sub_f16_e64 v159, v159, v158
	v_fmac_f16_e32 v60, -0.5, v42
	v_fma_f16 v42, 0x3aee, v58, v193
	v_fmac_f16_e64 v193, 0xbaee, v58
	v_fmac_f16_e64 v169, -0.5, v45
	v_fma_f16 v45, 0x3aee, v59, v194
	v_fmac_f16_e64 v194, 0xbaee, v59
	v_fma_f16 v58, -0.5, v61, v168
	v_add_f16_e64 v59, v161, v158
	v_add_f16_e64 v172, v170, v162
	v_sub_f16_e64 v53, v175, v176
	v_sub_f16_e64 v56, v177, v178
	v_add_f16_e64 v46, v46, v180
	v_sub_f16_e64 v162, v162, v164
	v_add_f16_e64 v48, v48, v160
	v_fmac_f16_e64 v171, -0.5, v51
	v_fma_f16 v158, -0.5, v166, v170
	v_fma_f16 v61, 0x3aee, v159, v195
	v_fma_f16 v161, 0xbaee, v44, v60
	v_fmac_f16_e32 v60, 0x3aee, v44
	v_fma_f16 v44, 0xbaee, v47, v169
	v_fmac_f16_e64 v169, 0x3aee, v47
	v_pack_b32_f16 v47, v59, v49
	v_fmamk_f16 v49, v50, 0xbaee, v58
	v_fmac_f16_e64 v195, 0xbaee, v159
	v_fmac_f16_e32 v58, 0x3aee, v50
	v_add_f16_e64 v55, v55, v178
	v_add_f16_e64 v159, v172, v164
	;; [unrolled: 1-line block ×4, first 2 shown]
	v_fma_f16 v51, 0x3aee, v165, v196
	v_fmac_f16_e64 v196, 0xbaee, v165
	v_fma_f16 v160, 0x3aee, v162, v197
	v_add_f16_e64 v54, v54, v167
	v_add_f16_e64 v57, v57, v163
	v_pack_b32_f16 v46, v48, v46
	v_fma_f16 v48, 0xbaee, v53, v171
	v_fmac_f16_e64 v171, 0x3aee, v53
	v_fma_f16 v53, 0xbaee, v56, v158
	v_fmac_f16_e64 v197, 0xbaee, v162
	v_fmac_f16_e64 v158, 0x3aee, v56
	v_pack_b32_f16 v49, v49, v61
	v_pack_b32_f16 v56, v58, v195
	;; [unrolled: 1-line block ×13, first 2 shown]
	ds_store_2addr_b32 v153, v47, v49 offset1:15
	ds_store_b32 v153, v56 offset:120
	ds_store_2addr_b32 v157, v46, v44 offset1:15
	ds_store_b32 v157, v55 offset:120
	;; [unrolled: 2-line block ×5, first 2 shown]
	global_wb scope:SCOPE_SE
	s_wait_dscnt 0x0
	s_barrier_signal -1
	s_barrier_wait -1
	global_inv scope:SCOPE_SE
	ds_load_2addr_b32 v[42:43], v98 offset0:8 offset1:251
	ds_load_b32 v56, v62 offset:13608
	ds_load_2addr_b32 v[44:45], v95 offset0:4 offset1:247
	ds_load_2addr_b32 v[46:47], v96 offset0:2 offset1:245
	;; [unrolled: 1-line block ×4, first 2 shown]
	ds_load_2addr_b32 v[52:53], v62 offset1:243
	ds_load_2addr_b32 v[54:55], v97 offset0:6 offset1:249
	global_wb scope:SCOPE_SE
	s_wait_dscnt 0x0
	s_barrier_signal -1
	s_barrier_wait -1
	global_inv scope:SCOPE_SE
	v_lshrrev_b32_e32 v57, 16, v43
	v_mul_f16_e64 v58, v150, v43
	v_lshrrev_b32_e32 v59, 16, v56
	v_mul_f16_e64 v60, v148, v56
	v_lshrrev_b32_e32 v61, 16, v42
	v_lshrrev_b32_e32 v154, 16, v45
	v_mul_f16_e64 v155, v152, v45
	v_lshrrev_b32_e32 v160, 16, v46
	v_mul_f16_e64 v161, v146, v46
	;; [unrolled: 2-line block ×3, first 2 shown]
	v_lshrrev_b32_e32 v164, 16, v48
	v_lshrrev_b32_e32 v166, 16, v51
	v_mul_f16_e64 v153, v151, v42
	v_lshrrev_b32_e32 v156, 16, v44
	v_mul_f16_e64 v157, v149, v44
	;; [unrolled: 2-line block ×3, first 2 shown]
	v_mul_f16_e64 v167, v143, v51
	v_mul_f16_e64 v150, v150, v57
	v_fma_f16 v57, v36, v57, -v58
	v_mul_f16_e64 v58, v148, v59
	v_fma_f16 v59, v37, v59, -v60
	v_mul_f16_e64 v60, v151, v61
	v_mul_f16_e64 v148, v152, v154
	v_fma_f16 v151, v41, v154, -v155
	v_mul_f16_e64 v146, v146, v160
	v_fma_f16 v154, v34, v160, -v161
	;; [unrolled: 2-line block ×3, first 2 shown]
	v_mul_f16_e64 v144, v144, v164
	v_mul_f16_e64 v143, v143, v166
	;; [unrolled: 1-line block ×3, first 2 shown]
	v_fma_f16 v61, v40, v61, -v153
	v_mul_f16_e64 v149, v149, v156
	v_mul_f16_e64 v147, v147, v158
	v_fma_f16 v153, v39, v156, -v157
	v_fma_f16 v156, v32, v166, -v167
	;; [unrolled: 1-line block ×3, first 2 shown]
	v_lshrrev_b32_e32 v168, 16, v50
	v_lshrrev_b32_e32 v169, 16, v53
	;; [unrolled: 1-line block ×3, first 2 shown]
	v_fmac_f16_e32 v58, v37, v56
	v_fmac_f16_e64 v150, v36, v43
	v_fmac_f16_e64 v146, v34, v46
	;; [unrolled: 1-line block ×5, first 2 shown]
	v_add_f16_e32 v32, v57, v59
	v_add_f16_e64 v35, v154, v155
	v_lshrrev_b32_e32 v171, 16, v55
	v_fma_f16 v152, v38, v158, -v159
	v_fmac_f16_e32 v60, v40, v42
	v_fmac_f16_e64 v148, v41, v45
	v_fmac_f16_e64 v149, v39, v44
	v_fmac_f16_e64 v147, v38, v47
	v_add_f16_e64 v38, v156, v157
	v_add_f16_e64 v41, v61, v151
	;; [unrolled: 1-line block ×3, first 2 shown]
	v_sub_f16_e32 v34, v57, v59
	v_add_f16_e64 v36, v169, v154
	v_add_f16_e64 v39, v170, v156
	v_fmac_f16_e64 v168, -0.5, v32
	v_add_f16_e64 v32, v150, v58
	v_sub_f16_e64 v48, v150, v58
	v_fmac_f16_e64 v169, -0.5, v35
	v_add_f16_e64 v35, v146, v145
	v_sub_f16_e64 v51, v146, v145
	v_add_f16_e64 v56, v143, v144
	v_add_f16_e64 v57, v52, v143
	v_lshrrev_b32_e32 v172, 16, v54
	v_add_f16_e64 v42, v171, v61
	v_add_f16_e64 v44, v152, v153
	;; [unrolled: 1-line block ×3, first 2 shown]
	v_fmac_f16_e64 v170, -0.5, v38
	v_sub_f16_e64 v38, v143, v144
	v_fmac_f16_e64 v171, -0.5, v41
	v_add_f16_e64 v41, v60, v148
	v_add_f16_e64 v143, v147, v149
	v_sub_f16_e64 v37, v154, v155
	v_sub_f16_e64 v40, v156, v157
	v_add_f16_e64 v47, v50, v150
	v_add_f16_e64 v39, v39, v157
	v_fmac_f16_e32 v50, -0.5, v32
	v_fma_f16 v32, 0x3aee, v48, v168
	v_fmac_f16_e64 v168, 0xbaee, v48
	v_fmac_f16_e32 v53, -0.5, v35
	v_fma_f16 v35, 0x3aee, v51, v169
	v_fmac_f16_e64 v169, 0xbaee, v51
	v_fma_f16 v48, -0.5, v56, v52
	v_add_f16_e64 v51, v57, v144
	v_add_f16_e64 v45, v172, v152
	;; [unrolled: 1-line block ×3, first 2 shown]
	v_sub_f16_e64 v43, v61, v151
	v_sub_f16_e64 v46, v152, v153
	v_add_f16_e64 v36, v36, v155
	v_add_f16_e32 v61, v55, v60
	v_sub_f16_e64 v60, v60, v148
	v_fmac_f16_e64 v172, -0.5, v44
	v_sub_f16_e64 v44, v147, v149
	v_fma_f16 v52, 0x3aee, v38, v170
	v_fmac_f16_e64 v170, 0xbaee, v38
	v_add_f16_e64 v38, v49, v145
	v_fmac_f16_e32 v55, -0.5, v41
	v_fma_f16 v49, -0.5, v143, v54
	v_fmamk_f16 v57, v34, 0xbaee, v50
	v_fmac_f16_e32 v50, 0x3aee, v34
	v_fmamk_f16 v34, v37, 0xbaee, v53
	v_fmac_f16_e32 v53, 0x3aee, v37
	v_pack_b32_f16 v37, v51, v39
	v_fmamk_f16 v39, v40, 0xbaee, v48
	v_fmac_f16_e32 v48, 0x3aee, v40
	v_add_f16_e64 v45, v45, v153
	v_add_f16_e64 v54, v146, v149
	;; [unrolled: 1-line block ×3, first 2 shown]
	v_fma_f16 v41, 0x3aee, v60, v171
	v_fma_f16 v56, 0x3aee, v44, v172
	v_fmac_f16_e64 v172, 0xbaee, v44
	v_add_f16_e64 v44, v61, v148
	v_pack_b32_f16 v36, v38, v36
	v_fmamk_f16 v38, v43, 0xbaee, v55
	v_fmac_f16_e32 v55, 0x3aee, v43
	v_fmamk_f16 v43, v46, 0xbaee, v49
	v_add_f16_e32 v33, v33, v59
	v_fmac_f16_e64 v171, 0xbaee, v60
	v_add_f16_e32 v47, v47, v58
	v_fmac_f16_e32 v49, 0x3aee, v46
	v_pack_b32_f16 v39, v39, v52
	v_pack_b32_f16 v46, v48, v170
	;; [unrolled: 1-line block ×13, first 2 shown]
	ds_store_2addr_b32 v142, v37, v39 offset1:45
	ds_store_b32 v142, v46 offset:360
	ds_store_2addr_b32 v141, v36, v34 offset1:45
	ds_store_b32 v141, v45 offset:360
	;; [unrolled: 2-line block ×5, first 2 shown]
	global_wb scope:SCOPE_SE
	s_wait_dscnt 0x0
	s_barrier_signal -1
	s_barrier_wait -1
	global_inv scope:SCOPE_SE
	ds_load_2addr_b32 v[36:37], v98 offset0:8 offset1:251
	ds_load_b32 v40, v62 offset:13608
	ds_load_2addr_b32 v[38:39], v95 offset0:4 offset1:247
	ds_load_2addr_b32 v[41:42], v96 offset0:2 offset1:245
	;; [unrolled: 1-line block ×4, first 2 shown]
	ds_load_2addr_b32 v[47:48], v62 offset1:243
	ds_load_2addr_b32 v[49:50], v97 offset0:6 offset1:249
	v_mad_co_u64_u32 v[32:33], null, s26, v1, 0
	v_mad_co_u64_u32 v[34:35], null, s24, v0, 0
	global_wb scope:SCOPE_SE
	s_wait_dscnt 0x0
	s_barrier_signal -1
	s_barrier_wait -1
	global_inv scope:SCOPE_SE
	v_lshrrev_b32_e32 v51, 16, v37
	v_mul_f16_e64 v52, v135, v37
	v_lshrrev_b32_e32 v53, 16, v40
	v_mul_f16_e64 v54, v133, v40
	;; [unrolled: 2-line block ×7, first 2 shown]
	v_lshrrev_b32_e32 v143, 16, v43
	v_lshrrev_b32_e32 v145, 16, v46
	;; [unrolled: 1-line block ×3, first 2 shown]
	v_mul_f16_e64 v144, v128, v43
	v_mul_f16_e64 v146, v130, v46
	v_mul_f16_e64 v135, v135, v51
	v_fma_f16 v51, v26, v51, -v52
	v_mul_f16_e64 v52, v133, v53
	v_fma_f16 v53, v27, v53, -v54
	v_mul_f16_e64 v54, v136, v55
	;; [unrolled: 2-line block ×7, first 2 shown]
	v_mul_f16_e64 v130, v130, v145
	v_mul_f16_e64 v138, v132, v42
	;; [unrolled: 1-line block ×3, first 2 shown]
	v_fma_f16 v134, v22, v145, -v146
	v_fma_f16 v136, v23, v143, -v144
	v_lshrrev_b32_e32 v147, 16, v45
	v_lshrrev_b32_e32 v148, 16, v48
	;; [unrolled: 1-line block ×3, first 2 shown]
	v_fmac_f16_e32 v52, v27, v40
	v_fmac_f16_e64 v135, v26, v37
	v_fmac_f16_e32 v60, v24, v41
	v_fmac_f16_e64 v129, v25, v44
	v_fmac_f16_e64 v128, v23, v43
	;; [unrolled: 1-line block ×3, first 2 shown]
	v_add_f16_e32 v22, v51, v53
	v_add_f16_e64 v25, v131, v133
	v_lshrrev_b32_e32 v150, 16, v50
	v_fma_f16 v61, v28, v61, -v138
	v_fmac_f16_e32 v54, v30, v36
	v_fmac_f16_e32 v56, v31, v39
	;; [unrolled: 1-line block ×3, first 2 shown]
	v_fmac_f16_e64 v132, v28, v42
	v_add_f16_e64 v28, v134, v136
	v_add_f16_e32 v31, v55, v57
	v_add_f16_e64 v23, v147, v51
	v_sub_f16_e32 v24, v51, v53
	v_add_f16_e64 v26, v148, v131
	v_add_f16_e64 v29, v149, v134
	v_fmac_f16_e64 v147, -0.5, v22
	v_add_f16_e64 v22, v135, v52
	v_sub_f16_e64 v42, v135, v52
	v_fmac_f16_e64 v148, -0.5, v25
	v_add_f16_e64 v25, v60, v129
	v_sub_f16_e64 v44, v60, v129
	v_add_f16_e64 v46, v130, v128
	v_add_f16_e64 v51, v47, v130
	v_lshrrev_b32_e32 v151, 16, v49
	v_add_f16_e64 v36, v150, v55
	v_add_f16_e32 v38, v61, v59
	v_add_f16_e32 v43, v48, v60
	v_fmac_f16_e64 v149, -0.5, v28
	v_sub_f16_e64 v28, v130, v128
	v_fmac_f16_e64 v150, -0.5, v31
	v_add_f16_e32 v31, v54, v56
	v_add_f16_e64 v60, v132, v58
	v_sub_f16_e64 v27, v131, v133
	v_sub_f16_e64 v30, v134, v136
	v_add_f16_e64 v41, v45, v135
	v_add_f16_e64 v29, v29, v136
	v_fmac_f16_e32 v45, -0.5, v22
	v_fma_f16 v22, 0x3aee, v42, v147
	v_fmac_f16_e64 v147, 0xbaee, v42
	v_fmac_f16_e32 v48, -0.5, v25
	v_fma_f16 v25, 0x3aee, v44, v148
	v_fmac_f16_e64 v148, 0xbaee, v44
	v_fma_f16 v42, -0.5, v46, v47
	v_add_f16_e64 v44, v51, v128
	v_add_f16_e64 v39, v151, v61
	v_sub_f16_e32 v40, v61, v59
	v_add_f16_e64 v61, v49, v132
	v_sub_f16_e32 v37, v55, v57
	v_add_f16_e64 v26, v26, v133
	v_add_f16_e32 v55, v50, v54
	v_sub_f16_e32 v54, v54, v56
	v_fmac_f16_e64 v151, -0.5, v38
	v_sub_f16_e64 v38, v132, v58
	v_fma_f16 v46, 0x3aee, v28, v149
	v_fmac_f16_e64 v149, 0xbaee, v28
	v_add_f16_e64 v28, v43, v129
	v_fmac_f16_e32 v50, -0.5, v31
	v_fma_f16 v43, -0.5, v60, v49
	v_fmamk_f16 v51, v24, 0xbaee, v45
	v_fmac_f16_e32 v45, 0x3aee, v24
	v_fmamk_f16 v24, v27, 0xbaee, v48
	v_fmac_f16_e32 v48, 0x3aee, v27
	v_pack_b32_f16 v27, v44, v29
	v_fmamk_f16 v29, v30, 0xbaee, v42
	v_fmac_f16_e32 v42, 0x3aee, v30
	v_add_f16_e32 v39, v39, v59
	v_add_f16_e32 v47, v61, v58
	v_fma_f16 v31, 0x3aee, v54, v150
	v_fma_f16 v49, 0x3aee, v38, v151
	v_pack_b32_f16 v26, v28, v26
	v_fmamk_f16 v28, v37, 0xbaee, v50
	v_fmac_f16_e32 v50, 0x3aee, v37
	v_fmamk_f16 v37, v40, 0xbaee, v43
	v_add_f16_e32 v36, v36, v57
	v_add_f16_e32 v23, v23, v53
	v_fmac_f16_e64 v150, 0xbaee, v54
	v_fmac_f16_e64 v151, 0xbaee, v38
	v_add_f16_e32 v38, v55, v56
	v_add_f16_e32 v41, v41, v52
	v_fmac_f16_e32 v43, 0x3aee, v40
	v_pack_b32_f16 v29, v29, v46
	v_pack_b32_f16 v40, v42, v149
	v_pack_b32_f16 v24, v24, v25
	v_pack_b32_f16 v30, v47, v39
	v_pack_b32_f16 v39, v48, v148
	v_pack_b32_f16 v37, v37, v49
	v_pack_b32_f16 v28, v28, v31
	v_pack_b32_f16 v36, v38, v36
	v_pack_b32_f16 v23, v41, v23
	v_pack_b32_f16 v38, v45, v147
	v_pack_b32_f16 v25, v50, v150
	v_pack_b32_f16 v41, v43, v151
	v_pack_b32_f16 v22, v51, v22
	ds_store_2addr_b32 v113, v27, v29 offset1:135
	ds_store_b32 v113, v40 offset:1080
	ds_store_2addr_b32 v124, v26, v24 offset1:135
	ds_store_b32 v124, v39 offset:1080
	;; [unrolled: 2-line block ×5, first 2 shown]
	v_dual_mov_b32 v28, v33 :: v_dual_mov_b32 v29, v35
	global_wb scope:SCOPE_SE
	s_wait_dscnt 0x0
	s_barrier_signal -1
	s_barrier_wait -1
	global_inv scope:SCOPE_SE
	ds_load_2addr_b32 v[22:23], v94 offset0:12 offset1:255
	ds_load_2addr_b32 v[26:27], v85 offset0:6 offset1:249
	;; [unrolled: 1-line block ×4, first 2 shown]
	v_mad_co_u64_u32 v[35:36], null, s27, v1, v[28:29]
	ds_load_2addr_b32 v[36:37], v98 offset0:8 offset1:251
	ds_load_b32 v1, v62 offset:13608
	ds_load_2addr_b32 v[38:39], v62 offset1:243
	ds_load_2addr_b32 v[40:41], v97 offset0:6 offset1:249
	global_wb scope:SCOPE_SE
	s_wait_dscnt 0x0
	s_barrier_signal -1
	s_barrier_wait -1
	global_inv scope:SCOPE_SE
	s_mul_u64 s[26:27], s[24:25], 0xb64
	v_lshrrev_b32_e32 v28, 16, v23
	v_mul_f16_e32 v33, v123, v23
	v_lshrrev_b32_e32 v42, 16, v26
	v_mul_f16_e32 v43, v121, v26
	;; [unrolled: 2-line block ×10, first 2 shown]
	v_mul_f16_e32 v123, v123, v28
	v_fma_f16 v28, v10, v28, -v33
	v_mul_f16_e32 v33, v121, v42
	v_fma_f16 v42, v11, v42, -v43
	;; [unrolled: 2-line block ×6, first 2 shown]
	v_mul_f16_e32 v51, v117, v52
	v_mul_f16_e32 v116, v116, v54
	v_fma_f16 v54, v4, v54, -v55
	v_fma_f16 v52, v5, v52, -v53
	;; [unrolled: 1-line block ×4, first 2 shown]
	v_mul_f16_e32 v53, v115, v56
	v_mul_f16_e32 v56, v114, v58
	v_lshrrev_b32_e32 v124, 16, v41
	v_fmac_f16_e32 v123, v10, v23
	v_fmac_f16_e32 v33, v11, v26
	v_add_f16_e32 v11, v54, v52
	v_lshrrev_b32_e32 v61, 16, v39
	v_lshrrev_b32_e32 v113, 16, v40
	;; [unrolled: 1-line block ×3, first 2 shown]
	v_fmac_f16_e32 v45, v7, v27
	v_fmac_f16_e32 v43, v6, v24
	v_fmac_f16_e32 v47, v8, v25
	v_fmac_f16_e32 v49, v9, v30
	v_add_f16_e32 v25, v55, v57
	v_lshrrev_b32_e32 v60, 16, v38
	v_fmac_f16_e32 v51, v5, v31
	v_fmac_f16_e32 v116, v4, v36
	;; [unrolled: 1-line block ×4, first 2 shown]
	v_add_f16_e32 v8, v48, v50
	v_add_f16_e32 v2, v28, v42
	;; [unrolled: 1-line block ×4, first 2 shown]
	v_fmac_f16_e32 v124, -0.5, v11
	v_add_f16_e32 v11, v123, v33
	v_add_f16_e32 v4, v61, v44
	;; [unrolled: 1-line block ×4, first 2 shown]
	v_fmac_f16_e32 v125, -0.5, v25
	v_add_f16_e32 v25, v43, v45
	v_add_f16_e32 v31, v47, v49
	;; [unrolled: 1-line block ×3, first 2 shown]
	v_sub_f16_e32 v6, v44, v46
	v_fmac_f16_e32 v113, -0.5, v8
	v_add_f16_e32 v8, v38, v123
	v_add_f16_e32 v37, v116, v51
	;; [unrolled: 1-line block ×3, first 2 shown]
	v_sub_f16_e32 v3, v28, v42
	v_fmac_f16_e32 v60, -0.5, v2
	v_fmac_f16_e32 v61, -0.5, v5
	v_add_f16_e32 v5, v10, v52
	v_sub_f16_e32 v10, v123, v33
	v_fma_f16 v11, -0.5, v11, v38
	v_add_f16_e32 v2, v4, v46
	v_add_f16_e32 v4, v7, v50
	;; [unrolled: 1-line block ×4, first 2 shown]
	v_sub_f16_e32 v9, v48, v50
	v_sub_f16_e32 v27, v43, v45
	v_add_f16_e32 v28, v40, v47
	v_sub_f16_e32 v30, v47, v49
	v_add_f16_e32 v36, v41, v116
	v_add_f16_e32 v43, v22, v53
	v_fmac_f16_e32 v39, -0.5, v25
	v_fma_f16 v31, -0.5, v31, v40
	v_sub_f16_e32 v23, v54, v52
	v_sub_f16_e32 v26, v55, v57
	v_add_f16_e32 v1, v1, v42
	v_sub_f16_e32 v42, v116, v51
	v_sub_f16_e32 v46, v53, v56
	v_add_f16_e32 v8, v8, v33
	v_fmac_f16_e32 v41, -0.5, v37
	v_fmac_f16_e32 v22, -0.5, v44
	v_fmamk_f16 v33, v10, 0x3aee, v60
	v_fmamk_f16 v38, v3, 0xbaee, v11
	v_fmac_f16_e32 v60, 0xbaee, v10
	v_add_f16_e32 v10, v24, v45
	v_fmac_f16_e32 v11, 0x3aee, v3
	v_fmamk_f16 v24, v27, 0x3aee, v61
	v_fmac_f16_e32 v61, 0xbaee, v27
	v_add_f16_e32 v25, v28, v49
	v_fmamk_f16 v27, v30, 0x3aee, v113
	v_add_f16_e32 v28, v36, v51
	v_add_f16_e32 v36, v43, v56
	v_fmamk_f16 v3, v6, 0xbaee, v39
	v_fmac_f16_e32 v39, 0x3aee, v6
	v_fmamk_f16 v6, v9, 0xbaee, v31
	v_fmac_f16_e32 v113, 0xbaee, v30
	;; [unrolled: 2-line block ×4, first 2 shown]
	v_fmac_f16_e32 v31, 0x3aee, v9
	v_fmamk_f16 v9, v23, 0xbaee, v41
	v_fmac_f16_e32 v41, 0x3aee, v23
	v_fmamk_f16 v23, v26, 0xbaee, v22
	v_fmac_f16_e32 v22, 0x3aee, v26
	v_pack_b32_f16 v1, v8, v1
	v_pack_b32_f16 v8, v38, v33
	;; [unrolled: 1-line block ×15, first 2 shown]
	ds_store_b32 v62, v1
	ds_store_b32 v62, v8 offset:1620
	ds_store_b32 v62, v10 offset:3240
	ds_store_b32 v112, v2
	ds_store_b32 v112, v3 offset:1620
	ds_store_b32 v112, v11 offset:3240
	;; [unrolled: 1-line block ×5, first 2 shown]
	ds_store_b32 v111, v5
	ds_store_b32 v111, v9 offset:1620
	ds_store_b32 v111, v25 offset:3240
	ds_store_b32 v110, v7 offset:9720
	ds_store_b32 v110, v23 offset:11340
	ds_store_b32 v110, v22 offset:12960
	global_wb scope:SCOPE_SE
	s_wait_dscnt 0x0
	s_barrier_signal -1
	s_barrier_wait -1
	global_inv scope:SCOPE_SE
	v_mov_b32_e32 v33, v35
	ds_load_2addr_b32 v[1:2], v62 offset1:243
	ds_load_2addr_b32 v[3:4], v94 offset0:12 offset1:255
	ds_load_2addr_b32 v[5:6], v85 offset0:6 offset1:249
	;; [unrolled: 1-line block ×3, first 2 shown]
	v_mad_co_u64_u32 v[9:10], null, s25, v0, v[29:30]
	ds_load_2addr_b32 v[10:11], v97 offset0:6 offset1:249
	ds_load_2addr_b32 v[22:23], v95 offset0:4 offset1:247
	;; [unrolled: 1-line block ×3, first 2 shown]
	ds_load_b32 v0, v62 offset:13608
	v_lshlrev_b64_e32 v[26:27], 2, v[32:33]
	v_mov_b32_e32 v35, v9
	s_delay_alu instid0(VALU_DEP_1)
	v_lshlrev_b64_e32 v[28:29], 2, v[34:35]
	s_wait_dscnt 0x7
	v_lshrrev_b32_e32 v9, 16, v1
	s_wait_dscnt 0x6
	v_lshrrev_b32_e32 v30, 16, v4
	s_wait_dscnt 0x5
	v_lshrrev_b32_e32 v31, 16, v5
	v_mul_f16_e32 v37, v103, v4
	s_wait_dscnt 0x4
	v_lshrrev_b32_e32 v33, 16, v7
	v_lshrrev_b32_e32 v34, 16, v6
	;; [unrolled: 1-line block ×3, first 2 shown]
	s_wait_dscnt 0x2
	v_lshrrev_b32_e32 v38, 16, v22
	v_mul_f16_e32 v40, v102, v5
	v_mul_f16_e32 v43, v105, v7
	;; [unrolled: 1-line block ×3, first 2 shown]
	s_wait_dscnt 0x1
	v_lshrrev_b32_e32 v41, 16, v24
	v_lshrrev_b32_e32 v42, 16, v23
	;; [unrolled: 1-line block ×3, first 2 shown]
	v_mul_f16_e32 v46, v106, v8
	s_wait_dscnt 0x0
	v_lshrrev_b32_e32 v47, 16, v0
	v_mul_f16_e32 v48, v107, v22
	v_mul_f16_e32 v49, v104, v24
	;; [unrolled: 1-line block ×6, first 2 shown]
	v_fma_f16 v30, v14, v30, -v37
	v_mul_f16_e32 v37, v102, v31
	v_fma_f16 v31, v15, v31, -v40
	v_mul_f16_e32 v40, v101, v34
	v_mul_f16_e32 v55, v105, v33
	v_fma_f16 v33, v16, v33, -v43
	v_fma_f16 v34, v17, v34, -v44
	v_mul_f16_e32 v43, v106, v36
	v_mul_f16_e32 v44, v107, v38
	v_fma_f16 v36, v20, v36, -v46
	v_fma_f16 v38, v21, v38, -v48
	v_mul_f16_e32 v46, v104, v41
	v_fma_f16 v41, v18, v41, -v49
	v_mul_f16_e32 v48, v108, v42
	;; [unrolled: 2-line block ×4, first 2 shown]
	v_fma_f16 v47, v13, v47, -v52
	v_fmac_f16_e32 v54, v14, v4
	v_fmac_f16_e32 v37, v15, v5
	;; [unrolled: 1-line block ×6, first 2 shown]
	v_lshrrev_b32_e32 v32, 16, v2
	v_lshrrev_b32_e32 v35, 16, v10
	;; [unrolled: 1-line block ×4, first 2 shown]
	v_fmac_f16_e32 v46, v18, v24
	v_fmac_f16_e32 v48, v19, v23
	;; [unrolled: 1-line block ×4, first 2 shown]
	v_add_f16_e32 v4, v9, v30
	v_add_f16_e32 v5, v30, v31
	;; [unrolled: 1-line block ×6, first 2 shown]
	v_sub_f16_e32 v0, v30, v31
	v_add_f16_e32 v24, v55, v40
	v_add_f16_e32 v30, v43, v44
	v_sub_f16_e32 v6, v33, v34
	v_add_f16_e32 v7, v32, v33
	v_sub_f16_e32 v12, v36, v38
	v_add_f16_e32 v13, v35, v36
	v_add_f16_e32 v16, v39, v41
	;; [unrolled: 1-line block ×6, first 2 shown]
	v_fmac_f16_e32 v9, -0.5, v5
	v_sub_f16_e32 v5, v54, v37
	v_add_f16_e32 v23, v2, v55
	v_fmac_f16_e32 v32, -0.5, v8
	v_sub_f16_e32 v8, v55, v40
	v_add_f16_e32 v25, v10, v43
	;; [unrolled: 3-line block ×3, first 2 shown]
	v_add_f16_e32 v33, v46, v48
	v_add_f16_e32 v36, v49, v50
	v_fmac_f16_e32 v53, -0.5, v20
	v_sub_f16_e32 v20, v49, v50
	v_fma_f16 v1, -0.5, v22, v1
	v_fmac_f16_e32 v2, -0.5, v24
	v_fma_f16 v10, -0.5, v30, v10
	v_sub_f16_e32 v15, v41, v42
	v_sub_f16_e32 v18, v45, v47
	v_add_f16_e32 v7, v7, v34
	v_add_f16_e32 v13, v13, v38
	;; [unrolled: 1-line block ×3, first 2 shown]
	v_fmac_f16_e32 v39, -0.5, v17
	v_sub_f16_e32 v17, v46, v48
	v_add_f16_e32 v34, v3, v49
	v_fmamk_f16 v22, v5, 0x3aee, v9
	v_fmac_f16_e32 v9, 0xbaee, v5
	v_add_f16_e32 v5, v23, v40
	v_fmamk_f16 v23, v8, 0x3aee, v32
	v_fmac_f16_e32 v32, 0xbaee, v8
	;; [unrolled: 3-line block ×3, first 2 shown]
	v_add_f16_e32 v14, v31, v48
	v_fmac_f16_e32 v11, -0.5, v33
	v_fmac_f16_e32 v3, -0.5, v36
	v_fmamk_f16 v30, v20, 0x3aee, v53
	v_fmac_f16_e32 v53, 0xbaee, v20
	v_fmamk_f16 v20, v0, 0xbaee, v1
	v_fmac_f16_e32 v1, 0x3aee, v0
	v_add_f16_e32 v21, v21, v37
	v_fmamk_f16 v0, v6, 0xbaee, v2
	v_fmac_f16_e32 v2, 0x3aee, v6
	v_fmamk_f16 v6, v12, 0xbaee, v10
	v_fmac_f16_e32 v10, 0x3aee, v12
	v_add_f16_e32 v19, v19, v47
	v_fmamk_f16 v25, v17, 0x3aee, v39
	v_fmac_f16_e32 v39, 0xbaee, v17
	v_add_f16_e32 v17, v34, v50
	v_fmamk_f16 v12, v15, 0xbaee, v11
	v_fmac_f16_e32 v11, 0x3aee, v15
	v_fmamk_f16 v15, v18, 0xbaee, v3
	v_fmac_f16_e32 v3, 0x3aee, v18
	v_pack_b32_f16 v5, v5, v7
	v_pack_b32_f16 v7, v8, v13
	;; [unrolled: 1-line block ×15, first 2 shown]
	ds_store_b32 v62, v14 offset:4860
	ds_store_b32 v62, v1 offset:9720
	ds_store_2addr_b32 v62, v4, v5 offset1:243
	ds_store_2addr_b32 v96, v0, v6 offset0:2 offset1:245
	ds_store_2addr_b32 v109, v2, v9 offset0:1 offset1:244
	;; [unrolled: 1-line block ×3, first 2 shown]
	ds_store_b32 v62, v11 offset:12636
	ds_store_b32 v62, v13 offset:3888
	ds_store_2addr_b32 v98, v10, v12 offset0:8 offset1:251
	ds_store_b32 v62, v3 offset:13608
	global_wb scope:SCOPE_SE
	s_wait_dscnt 0x0
	s_barrier_signal -1
	s_barrier_wait -1
	global_inv scope:SCOPE_SE
	ds_load_2addr_b32 v[14:15], v62 offset1:243
	ds_load_2addr_b32 v[6:7], v97 offset0:6 offset1:249
	ds_load_2addr_b32 v[16:17], v96 offset0:2 offset1:245
	;; [unrolled: 1-line block ×5, first 2 shown]
	v_add_co_u32 v2, vcc_lo, s0, v26
	s_wait_alu 0xfffd
	v_add_co_ci_u32_e32 v3, vcc_lo, s1, v27, vcc_lo
	s_mul_i32 s0, s25, 0xffffd63c
	s_delay_alu instid0(VALU_DEP_2) | instskip(SKIP_1) | instid1(VALU_DEP_2)
	v_add_co_u32 v10, vcc_lo, v2, v28
	s_wait_alu 0xfffd
	v_add_co_ci_u32_e32 v11, vcc_lo, v3, v29, vcc_lo
	ds_load_2addr_b32 v[2:3], v85 offset0:6 offset1:249
	s_wait_alu 0xfffe
	v_add_co_u32 v12, vcc_lo, v10, s26
	s_wait_alu 0xfffd
	v_add_co_ci_u32_e32 v13, vcc_lo, s27, v11, vcc_lo
	s_sub_co_i32 s23, s0, s24
	s_wait_dscnt 0x6
	v_lshrrev_b32_e32 v18, 16, v14
	v_mul_f16_e32 v19, v93, v14
	s_wait_dscnt 0x5
	v_lshrrev_b32_e32 v20, 16, v7
	v_mul_f16_e32 v21, v92, v7
	;; [unrolled: 3-line block ×3, first 2 shown]
	v_fma_f16 v18, v71, v18, -v19
	v_mul_f16_e32 v23, v91, v16
	s_wait_dscnt 0x3
	v_lshrrev_b32_e32 v24, 16, v1
	v_mul_f16_e32 v25, v90, v1
	s_wait_dscnt 0x2
	v_lshrrev_b32_e32 v26, 16, v8
	v_mul_f16_e32 v27, v89, v8
	v_fma_f16 v19, v75, v20, -v21
	v_cvt_f32_f16_e32 v18, v18
	v_lshrrev_b32_e32 v28, 16, v15
	v_mul_f16_e32 v29, v88, v15
	s_wait_dscnt 0x1
	v_lshrrev_b32_e32 v30, 16, v4
	v_mul_f16_e32 v31, v87, v4
	v_mul_f16_e32 v35, v92, v20
	;; [unrolled: 1-line block ×3, first 2 shown]
	v_fma_f16 v21, v73, v22, -v23
	v_fma_f16 v22, v77, v24, -v25
	;; [unrolled: 1-line block ×3, first 2 shown]
	v_cvt_f32_f16_e32 v27, v19
	v_cvt_f64_f32_e32 v[18:19], v18
	v_lshrrev_b32_e32 v32, 16, v17
	v_mul_f16_e32 v33, v86, v17
	v_mul_f16_e32 v36, v90, v24
	;; [unrolled: 1-line block ×4, first 2 shown]
	v_fma_f16 v24, v70, v28, -v29
	v_mul_f16_e32 v28, v87, v30
	v_fma_f16 v25, v74, v30, -v31
	v_cvt_f32_f16_e32 v21, v21
	v_cvt_f32_f16_e32 v30, v22
	;; [unrolled: 1-line block ×3, first 2 shown]
	v_cvt_f64_f32_e32 v[22:23], v27
	v_mul_f16_e32 v29, v86, v32
	v_fma_f16 v26, v72, v32, -v33
	v_cvt_f32_f16_e32 v32, v24
	v_fmac_f16_e32 v35, v75, v7
	v_fmac_f16_e32 v36, v77, v1
	v_cvt_f32_f16_e32 v1, v25
	v_cvt_f64_f32_e32 v[24:25], v21
	v_fmac_f16_e32 v37, v76, v8
	v_cvt_f64_f32_e32 v[7:8], v30
	v_fmac_f16_e32 v34, v71, v14
	v_fmac_f16_e32 v38, v70, v15
	v_cvt_f64_f32_e32 v[14:15], v31
	v_fmac_f16_e32 v20, v73, v16
	v_fmac_f16_e32 v29, v72, v17
	v_cvt_f64_f32_e32 v[16:17], v32
	v_fmac_f16_e32 v28, v74, v4
	v_cvt_f32_f16_e32 v4, v26
	v_cvt_f32_f16_e32 v21, v34
	v_cvt_f64_f32_e32 v[26:27], v1
	v_cvt_f32_f16_e32 v1, v35
	v_cvt_f32_f16_e32 v28, v28
	;; [unrolled: 1-line block ×3, first 2 shown]
	v_cvt_f64_f32_e32 v[32:33], v21
	v_cvt_f32_f16_e32 v20, v20
	v_cvt_f64_f32_e32 v[34:35], v1
	v_cvt_f64_f32_e32 v[44:45], v28
	v_mul_f64_e32 v[48:49], s[28:29], v[18:19]
	v_cvt_f64_f32_e32 v[46:47], v29
	v_cvt_f32_f16_e32 v39, v36
	v_cvt_f32_f16_e32 v40, v37
	v_cvt_f64_f32_e32 v[36:37], v20
	v_cvt_f64_f32_e32 v[30:31], v4
	v_cvt_f32_f16_e32 v42, v38
	v_cvt_f64_f32_e32 v[38:39], v39
	v_cvt_f64_f32_e32 v[40:41], v40
	s_wait_dscnt 0x0
	v_lshrrev_b32_e32 v1, 16, v2
	v_add_co_u32 v20, vcc_lo, v12, s26
	v_mul_f64_e32 v[50:51], s[28:29], v[22:23]
	v_cvt_f64_f32_e32 v[42:43], v42
	s_wait_alu 0xfffd
	v_add_co_ci_u32_e32 v21, vcc_lo, s27, v13, vcc_lo
	v_mul_f16_e32 v4, v84, v1
	v_add_co_u32 v22, vcc_lo, v20, s26
	v_mul_f64_e32 v[52:53], s[28:29], v[24:25]
	v_mul_f64_e32 v[54:55], s[28:29], v[7:8]
	s_wait_alu 0xfffd
	v_add_co_ci_u32_e32 v23, vcc_lo, s27, v21, vcc_lo
	v_mul_f64_e32 v[56:57], s[28:29], v[14:15]
	v_fmac_f16_e32 v4, v69, v2
	v_add_co_u32 v28, vcc_lo, v22, s26
	v_mul_f64_e32 v[58:59], s[28:29], v[16:17]
	s_wait_alu 0xfffd
	v_add_co_ci_u32_e32 v29, vcc_lo, s27, v23, vcc_lo
	v_mul_f64_e32 v[18:19], s[28:29], v[26:27]
	v_cvt_f32_f16_e32 v4, v4
	v_mul_f16_e32 v2, v84, v2
	s_delay_alu instid0(VALU_DEP_4)
	v_mad_co_u64_u32 v[7:8], null, 0xffffd63c, s24, v[28:29]
	v_mul_f64_e32 v[60:61], s[28:29], v[32:33]
	v_mul_f64_e32 v[70:71], s[28:29], v[34:35]
	;; [unrolled: 1-line block ×3, first 2 shown]
	v_and_or_b32 v44, 0x1ff, v49, v48
	v_mul_f64_e32 v[16:17], s[28:29], v[46:47]
	v_cvt_f64_f32_e32 v[26:27], v4
	v_lshrrev_b32_e32 v45, 8, v49
	v_mul_f64_e32 v[72:73], s[28:29], v[36:37]
	v_cmp_ne_u32_e32 vcc_lo, 0, v44
	v_mul_f64_e32 v[14:15], s[28:29], v[30:31]
	v_bfe_u32 v4, v49, 20, 11
	v_lshrrev_b32_e32 v30, 16, v49
	v_mul_f64_e32 v[38:39], s[28:29], v[38:39]
	s_wait_alu 0xfffd
	v_cndmask_b32_e64 v44, 0, 1, vcc_lo
	v_mul_f64_e32 v[40:41], s[28:29], v[40:41]
	v_and_or_b32 v46, 0x1ff, v51, v50
	v_lshrrev_b32_e32 v47, 8, v51
	v_bfe_u32 v48, v51, 20, 11
	v_lshrrev_b32_e32 v31, 16, v51
	v_mul_f64_e32 v[42:43], s[28:29], v[42:43]
	v_cmp_ne_u32_e32 vcc_lo, 0, v46
	v_and_or_b32 v44, 0xffe, v45, v44
	v_and_or_b32 v49, 0x1ff, v53, v52
	;; [unrolled: 1-line block ×3, first 2 shown]
	v_lshrrev_b32_e32 v50, 8, v53
	v_bfe_u32 v51, v53, 20, 11
	v_lshrrev_b32_e32 v32, 16, v53
	v_lshrrev_b32_e32 v53, 8, v55
	v_bfe_u32 v54, v55, 20, 11
	v_lshrrev_b32_e32 v33, 16, v55
	v_and_or_b32 v55, 0x1ff, v57, v56
	s_wait_alu 0xfffd
	v_cndmask_b32_e64 v46, 0, 1, vcc_lo
	v_cmp_ne_u32_e32 vcc_lo, 0, v52
	v_lshrrev_b32_e32 v56, 8, v57
	v_bfe_u32 v74, v57, 20, 11
	v_lshrrev_b32_e32 v34, 16, v57
	v_and_or_b32 v57, 0x1ff, v59, v58
	s_wait_alu 0xfffd
	v_cndmask_b32_e64 v52, 0, 1, vcc_lo
	v_cmp_ne_u32_e32 vcc_lo, 0, v55
	;; [unrolled: 7-line block ×3, first 2 shown]
	v_and_or_b32 v60, 0x1ff, v61, v60
	v_lshrrev_b32_e32 v85, 8, v61
	v_bfe_u32 v86, v61, 20, 11
	v_lshrrev_b32_e32 v18, 16, v61
	s_wait_alu 0xfffd
	v_cndmask_b32_e64 v57, 0, 1, vcc_lo
	v_cmp_ne_u32_e32 vcc_lo, 0, v49
	v_and_or_b32 v61, 0x1ff, v71, v70
	v_and_or_b32 v72, 0x1ff, v73, v72
	v_lshrrev_b32_e32 v88, 8, v73
	v_bfe_u32 v89, v73, 20, 11
	s_wait_alu 0xfffd
	v_cndmask_b32_e64 v49, 0, 1, vcc_lo
	v_cmp_ne_u32_e32 vcc_lo, 0, v59
	v_lshrrev_b32_e32 v37, 16, v73
	v_and_or_b32 v73, 0x1ff, v39, v38
	v_and_or_b32 v93, 0x1ff, v41, v40
	;; [unrolled: 1-line block ×3, first 2 shown]
	s_wait_alu 0xfffd
	v_cndmask_b32_e64 v59, 0, 1, vcc_lo
	v_cmp_ne_u32_e32 vcc_lo, 0, v60
	v_and_or_b32 v42, 0x1ff, v43, v42
	v_and_or_b32 v52, 0xffe, v53, v52
	;; [unrolled: 1-line block ×4, first 2 shown]
	s_wait_alu 0xfffd
	v_cndmask_b32_e64 v60, 0, 1, vcc_lo
	v_cmp_ne_u32_e32 vcc_lo, 0, v61
	v_and_or_b32 v55, 0xffe, v58, v57
	v_lshrrev_b32_e32 v94, 8, v41
	v_add_nc_u32_e32 v102, 0xfffffc10, v4
	v_bfe_u32 v77, v19, 20, 11
	s_wait_alu 0xfffd
	v_cndmask_b32_e64 v61, 0, 1, vcc_lo
	v_cmp_ne_u32_e32 vcc_lo, 0, v72
	v_lshrrev_b32_e32 v70, 8, v71
	v_bfe_u32 v87, v71, 20, 11
	v_lshrrev_b32_e32 v36, 16, v71
	v_sub_nc_u32_e32 v71, 0x3f1, v48
	s_wait_alu 0xfffd
	v_cndmask_b32_e64 v47, 0, 1, vcc_lo
	v_cmp_ne_u32_e32 vcc_lo, 0, v73
	v_lshrrev_b32_e32 v97, 8, v43
	v_add_nc_u32_e32 v48, 0xfffffc10, v48
	v_bfe_u32 v91, v39, 20, 11
	v_and_or_b32 v47, 0xffe, v88, v47
	s_wait_alu 0xfffd
	v_cndmask_b32_e64 v56, 0, 1, vcc_lo
	v_cmp_ne_u32_e32 vcc_lo, 0, v93
	v_or_b32_e32 v88, 0x1000, v44
	v_sub_nc_u32_e32 v92, 0x3f1, v54
	v_bfe_u32 v100, v25, 20, 11
	v_add_nc_u32_e32 v54, 0xfffffc10, v54
	s_wait_alu 0xfffd
	v_cndmask_b32_e64 v57, 0, 1, vcc_lo
	v_cmp_ne_u32_e32 vcc_lo, 0, v42
	v_sub_nc_u32_e32 v104, 0x3f1, v77
	v_sub_nc_u32_e32 v105, 0x3f1, v87
	v_or_b32_e32 v93, 0x1000, v46
	v_and_or_b32 v57, 0xffe, v94, v57
	s_wait_alu 0xfffd
	v_cndmask_b32_e64 v42, 0, 1, vcc_lo
	v_cmp_ne_u32_e32 vcc_lo, 0, v24
	v_lshl_or_b32 v94, v102, 12, v44
	v_lshrrev_b32_e32 v90, 8, v39
	v_lshrrev_b32_e32 v38, 16, v39
	v_and_or_b32 v42, 0xffe, v97, v42
	s_wait_alu 0xfffd
	v_cndmask_b32_e64 v58, 0, 1, vcc_lo
	v_cmp_ne_u32_e32 vcc_lo, 0, v44
	v_lshl_or_b32 v97, v48, 12, v46
	v_bfe_u32 v95, v41, 20, 11
	v_lshrrev_b32_e32 v40, 16, v41
	v_bfe_u32 v98, v43, 20, 11
	s_wait_alu 0xfffd
	v_cndmask_b32_e64 v44, 0, 1, vcc_lo
	v_cmp_ne_u32_e32 vcc_lo, 0, v46
	v_lshrrev_b32_e32 v41, 16, v43
	v_sub_nc_u32_e32 v43, 0x3f1, v75
	v_add_nc_u32_e32 v75, 0xfffffc10, v75
	v_and_or_b32 v39, 0x1ff, v17, v16
	s_wait_alu 0xfffd
	v_cndmask_b32_e64 v46, 0, 1, vcc_lo
	v_cmp_ne_u32_e32 vcc_lo, 0, v52
	v_sub_nc_u32_e32 v107, 0x3f1, v91
	v_sub_nc_u32_e32 v110, 0x3f1, v100
	v_add_nc_u32_e32 v16, 0xfffffc10, v100
	v_med3_i32 v100, v104, 0, 13
	v_and_or_b32 v45, 0xffe, v50, v49
	v_med3_i32 v50, v105, 0, 13
	v_or_b32_e32 v104, 0x1000, v52
	v_lshl_or_b32 v105, v54, 12, v52
	s_wait_alu 0xfffd
	v_cndmask_b32_e64 v52, 0, 1, vcc_lo
	v_cmp_ne_u32_e32 vcc_lo, 0, v55
	v_lshrrev_b32_e32 v99, 8, v25
	v_sub_nc_u32_e32 v103, 0x3f1, v51
	v_add_nc_u32_e32 v51, 0xfffffc10, v51
	v_med3_i32 v72, v107, 0, 13
	v_and_or_b32 v60, 0xffe, v85, v60
	v_or_b32_e32 v85, 0x1000, v55
	v_lshl_or_b32 v107, v75, 12, v55
	s_wait_alu 0xfffd
	v_cndmask_b32_e64 v55, 0, 1, vcc_lo
	v_cmp_ne_u32_e32 vcc_lo, 0, v45
	v_lshrrev_b32_e32 v76, 8, v19
	v_sub_nc_u32_e32 v96, 0x3f1, v74
	v_add_nc_u32_e32 v74, 0xfffffc10, v74
	v_sub_nc_u32_e32 v106, 0x3f1, v89
	v_and_or_b32 v56, 0xffe, v90, v56
	v_and_or_b32 v58, 0xffe, v99, v58
	v_or_b32_e32 v90, 0x1000, v45
	v_lshl_or_b32 v99, v51, 12, v45
	s_wait_alu 0xfffd
	v_cndmask_b32_e64 v45, 0, 1, vcc_lo
	v_cmp_ne_u32_e32 vcc_lo, 0, v53
	v_sub_nc_u32_e32 v101, 0x3f1, v4
	v_add_nc_u32_e32 v4, 0xfffffc10, v77
	v_sub_nc_u32_e32 v77, 0x3f1, v86
	v_add_nc_u32_e32 v86, 0xfffffc10, v86
	v_and_or_b32 v24, 0xffe, v76, v59
	v_med3_i32 v59, v106, 0, 13
	v_and_or_b32 v61, 0xffe, v70, v61
	v_or_b32_e32 v70, 0x1000, v53
	v_lshl_or_b32 v106, v74, 12, v53
	s_wait_alu 0xfffd
	v_cndmask_b32_e64 v53, 0, 1, vcc_lo
	v_cmp_ne_u32_e32 vcc_lo, 0, v60
	v_add_nc_u32_e32 v87, 0xfffffc10, v87
	v_or_b32_e32 v113, 0x1000, v60
	v_lshl_or_b32 v122, v86, 12, v60
	v_add_nc_u32_e32 v89, 0xfffffc10, v89
	s_wait_alu 0xfffd
	v_cndmask_b32_e64 v60, 0, 1, vcc_lo
	v_cmp_ne_u32_e32 vcc_lo, 0, v61
	v_or_b32_e32 v114, 0x1000, v61
	v_lshl_or_b32 v123, v87, 12, v61
	v_med3_i32 v101, v101, 0, 13
	v_add_nc_u32_e32 v91, 0xfffffc10, v91
	s_wait_alu 0xfffd
	v_cndmask_b32_e64 v61, 0, 1, vcc_lo
	v_cmp_ne_u32_e32 vcc_lo, 0, v47
	v_or_b32_e32 v115, 0x1000, v47
	v_lshl_or_b32 v124, v89, 12, v47
	v_med3_i32 v71, v71, 0, 13
	v_sub_nc_u32_e32 v108, 0x3f1, v95
	s_wait_alu 0xfffd
	v_cndmask_b32_e64 v47, 0, 1, vcc_lo
	v_cmp_ne_u32_e32 vcc_lo, 0, v56
	v_sub_nc_u32_e32 v109, 0x3f1, v98
	v_add_nc_u32_e32 v95, 0xfffffc10, v95
	v_or_b32_e32 v116, 0x1000, v56
	v_lshrrev_b32_e32 v120, v101, v88
	v_lshl_or_b32 v125, v91, 12, v56
	s_wait_alu 0xfffd
	v_cndmask_b32_e64 v56, 0, 1, vcc_lo
	v_cmp_ne_u32_e32 vcc_lo, 0, v57
	v_med3_i32 v103, v103, 0, 13
	v_add_nc_u32_e32 v98, 0xfffffc10, v98
	v_med3_i32 v76, v109, 0, 13
	v_lshrrev_b32_e32 v109, v71, v93
	v_or_b32_e32 v117, 0x1000, v57
	v_lshl_or_b32 v126, v95, 12, v57
	s_wait_alu 0xfffd
	v_cndmask_b32_e64 v57, 0, 1, vcc_lo
	v_cmp_ne_u32_e32 vcc_lo, 0, v42
	v_lshlrev_b32_e32 v101, v101, v120
	v_med3_i32 v92, v92, 0, 13
	v_or_b32_e32 v118, 0x1000, v42
	v_lshrrev_b32_e32 v121, v103, v90
	v_lshl_or_b32 v127, v98, 12, v42
	s_wait_alu 0xfffd
	v_cndmask_b32_e64 v42, 0, 1, vcc_lo
	v_lshlrev_b32_e32 v71, v71, v109
	v_cmp_ne_u32_e32 vcc_lo, v101, v88
	v_med3_i32 v96, v96, 0, 13
	v_med3_i32 v49, v77, 0, 13
	;; [unrolled: 1-line block ×3, first 2 shown]
	v_lshrrev_b32_e32 v110, v92, v104
	v_lshlrev_b32_e32 v103, v103, v121
	s_wait_alu 0xfffd
	v_cndmask_b32_e64 v88, 0, 1, vcc_lo
	v_cmp_ne_u32_e32 vcc_lo, v71, v93
	v_med3_i32 v43, v43, 0, 13
	v_lshrrev_b32_e32 v111, v96, v70
	v_lshlrev_b32_e32 v92, v92, v110
	v_med3_i32 v73, v108, 0, 13
	s_wait_alu 0xfffd
	v_cndmask_b32_e64 v71, 0, 1, vcc_lo
	v_cmp_ne_u32_e32 vcc_lo, v103, v90
	v_or_b32_e32 v108, 0x1000, v24
	v_lshrrev_b32_e32 v112, v43, v85
	v_lshlrev_b32_e32 v96, v96, v111
	v_lshrrev_b32_e32 v130, v49, v113
	s_wait_alu 0xfffd
	v_cndmask_b32_e64 v90, 0, 1, vcc_lo
	v_cmp_ne_u32_e32 vcc_lo, v92, v104
	v_lshrrev_b32_e32 v129, v100, v108
	v_lshlrev_b32_e32 v43, v43, v112
	v_lshrrev_b32_e32 v131, v50, v114
	v_lshlrev_b32_e32 v49, v49, v130
	s_wait_alu 0xfffd
	v_cndmask_b32_e64 v92, 0, 1, vcc_lo
	v_cmp_ne_u32_e32 vcc_lo, v96, v70
	v_lshlrev_b32_e32 v100, v100, v129
	v_lshrrev_b32_e32 v132, v59, v115
	v_lshlrev_b32_e32 v50, v50, v131
	v_lshrrev_b32_e32 v133, v72, v116
	s_wait_alu 0xfffd
	v_cndmask_b32_e64 v70, 0, 1, vcc_lo
	v_cmp_ne_u32_e32 vcc_lo, v43, v85
	v_lshlrev_b32_e32 v59, v59, v132
	v_lshrrev_b32_e32 v134, v73, v117
	v_lshlrev_b32_e32 v72, v72, v133
	v_or_b32_e32 v119, 0x1000, v58
	s_wait_alu 0xfffd
	v_cndmask_b32_e64 v43, 0, 1, vcc_lo
	v_cmp_ne_u32_e32 vcc_lo, v100, v108
	v_lshrrev_b32_e32 v135, v76, v118
	v_lshlrev_b32_e32 v73, v73, v134
	v_lshrrev_b32_e32 v136, v77, v119
	v_or_b32_e32 v88, v120, v88
	s_wait_alu 0xfffd
	v_cndmask_b32_e64 v85, 0, 1, vcc_lo
	v_cmp_ne_u32_e32 vcc_lo, v49, v113
	v_lshlrev_b32_e32 v76, v76, v135
	v_lshlrev_b32_e32 v77, v77, v136
	v_or_b32_e32 v71, v109, v71
	v_or_b32_e32 v90, v121, v90
	s_wait_alu 0xfffd
	v_cndmask_b32_e64 v49, 0, 1, vcc_lo
	v_cmp_ne_u32_e32 vcc_lo, v50, v114
	v_or_b32_e32 v92, v110, v92
	v_or_b32_e32 v70, v111, v70
	;; [unrolled: 1-line block ×4, first 2 shown]
	s_wait_alu 0xfffd
	v_cndmask_b32_e64 v50, 0, 1, vcc_lo
	v_cmp_ne_u32_e32 vcc_lo, v59, v115
	v_lshl_or_b32 v128, v16, 12, v58
	v_lshl_or_b32 v44, v44, 9, 0x7c00
	v_lshl_or_b32 v46, v46, 9, 0x7c00
	v_or_b32_e32 v50, v131, v50
	s_wait_alu 0xfffd
	v_cndmask_b32_e64 v59, 0, 1, vcc_lo
	v_cmp_ne_u32_e32 vcc_lo, v72, v116
	v_lshl_or_b32 v45, v45, 9, 0x7c00
	v_lshl_or_b32 v52, v52, 9, 0x7c00
	v_lshl_or_b32 v53, v53, 9, 0x7c00
	v_or_b32_e32 v59, v132, v59
	;; [unrolled: 7-line block ×4, first 2 shown]
	s_wait_alu 0xfffd
	v_cndmask_b32_e64 v76, 0, 1, vcc_lo
	v_cmp_ne_u32_e32 vcc_lo, v77, v119
	v_lshl_or_b32 v42, v42, 9, 0x7c00
	v_or_b32_e32 v85, v129, v85
	v_and_or_b32 v14, 0x1ff, v15, v14
	v_or_b32_e32 v76, v135, v76
	s_wait_alu 0xfffd
	v_cndmask_b32_e64 v77, 0, 1, vcc_lo
	v_cmp_gt_i32_e32 vcc_lo, 1, v102
	v_fma_f16 v1, v69, v1, -v2
	v_lshrrev_b32_e32 v19, 16, v19
	v_add_nc_u32_e32 v8, s23, v8
	v_or_b32_e32 v77, v136, v77
	s_wait_alu 0xfffd
	v_cndmask_b32_e32 v88, v94, v88, vcc_lo
	v_cmp_gt_i32_e32 vcc_lo, 1, v48
	v_cvt_f32_f16_e32 v1, v1
	s_delay_alu instid0(VALU_DEP_3)
	v_and_b32_e32 v93, 7, v88
	s_wait_alu 0xfffd
	v_cndmask_b32_e32 v71, v97, v71, vcc_lo
	v_cmp_gt_i32_e32 vcc_lo, 1, v51
	v_lshrrev_b32_e32 v88, 2, v88
	v_cmp_eq_u32_e64 s0, 3, v93
	s_delay_alu instid0(VALU_DEP_4)
	v_and_b32_e32 v94, 7, v71
	s_wait_alu 0xfffd
	v_cndmask_b32_e32 v90, v99, v90, vcc_lo
	v_cmp_gt_i32_e32 vcc_lo, 1, v54
	v_lshrrev_b32_e32 v71, 2, v71
	v_cmp_lt_i32_e64 s1, 5, v94
	v_cmp_eq_u32_e64 s2, 3, v94
	s_wait_alu 0xfffd
	v_cndmask_b32_e32 v92, v105, v92, vcc_lo
	v_cmp_gt_i32_e32 vcc_lo, 1, v74
	v_and_b32_e32 v96, 7, v90
	v_lshrrev_b32_e32 v90, 2, v90
	s_wait_alu 0xfffd
	v_dual_cndmask_b32 v70, v106, v70 :: v_dual_and_b32 v97, 7, v92
	v_cmp_gt_i32_e32 vcc_lo, 1, v75
	v_lshrrev_b32_e32 v92, 2, v92
	v_cmp_lt_i32_e64 s3, 5, v96
	s_delay_alu instid0(VALU_DEP_4)
	v_cmp_lt_i32_e64 s5, 5, v97
	v_cmp_eq_u32_e64 s6, 3, v97
	s_wait_alu 0xfffd
	v_cndmask_b32_e32 v43, v107, v43, vcc_lo
	v_cmp_gt_i32_e32 vcc_lo, 1, v86
	v_and_b32_e32 v99, 7, v70
	v_cmp_eq_u32_e64 s4, 3, v96
	v_lshrrev_b32_e32 v70, 2, v70
	s_wait_alu 0xfffd
	v_dual_cndmask_b32 v49, v122, v49 :: v_dual_and_b32 v100, 7, v43
	v_cmp_gt_i32_e32 vcc_lo, 1, v87
	v_lshrrev_b32_e32 v43, 2, v43
	v_cmp_lt_i32_e64 s7, 5, v99
	s_delay_alu instid0(VALU_DEP_4)
	v_cmp_lt_i32_e64 s9, 5, v100
	v_cmp_eq_u32_e64 s10, 3, v100
	s_wait_alu 0xfffd
	v_cndmask_b32_e32 v50, v123, v50, vcc_lo
	v_cmp_gt_i32_e32 vcc_lo, 1, v89
	v_cmp_eq_u32_e64 s8, 3, v99
	s_wait_alu 0xfffd
	s_delay_alu instid0(VALU_DEP_3) | instskip(SKIP_2) | instid1(VALU_DEP_3)
	v_dual_cndmask_b32 v59, v124, v59 :: v_dual_and_b32 v94, 7, v50
	v_cmp_gt_i32_e32 vcc_lo, 1, v91
	v_lshrrev_b32_e32 v50, 2, v50
	v_cmp_lt_i32_e64 s13, 5, v94
	s_delay_alu instid0(VALU_DEP_4)
	v_and_b32_e32 v96, 7, v59
	s_wait_alu 0xfffd
	v_cndmask_b32_e32 v72, v125, v72, vcc_lo
	v_cmp_gt_i32_e32 vcc_lo, 1, v95
	v_cmp_eq_u32_e64 s14, 3, v94
	v_lshrrev_b32_e32 v59, 2, v59
	v_cmp_lt_i32_e64 s15, 5, v96
	v_and_b32_e32 v97, 7, v72
	s_wait_alu 0xfffd
	v_cndmask_b32_e32 v73, v126, v73, vcc_lo
	v_cmp_gt_i32_e32 vcc_lo, 1, v98
	v_cmp_eq_u32_e64 s16, 3, v96
	v_lshrrev_b32_e32 v72, 2, v72
	v_cmp_lt_i32_e64 s17, 5, v97
	s_wait_alu 0xfffd
	v_dual_cndmask_b32 v76, v127, v76 :: v_dual_and_b32 v99, 7, v73
	v_cmp_gt_i32_e32 vcc_lo, 1, v16
	v_cmp_eq_u32_e64 s18, 3, v97
	v_lshrrev_b32_e32 v73, 2, v73
	s_delay_alu instid0(VALU_DEP_4)
	v_cmp_lt_i32_e64 s19, 5, v99
	s_wait_alu 0xfffd
	v_dual_cndmask_b32 v77, v128, v77 :: v_dual_and_b32 v100, 7, v76
	v_cmp_lt_i32_e32 vcc_lo, 5, v93
	v_and_b32_e32 v93, 7, v49
	v_lshrrev_b32_e32 v49, 2, v49
	v_cmp_eq_u32_e64 s20, 3, v99
	v_cmp_lt_i32_e64 s21, 5, v100
	s_or_b32 vcc_lo, s0, vcc_lo
	v_cmp_lt_i32_e64 s11, 5, v93
	s_wait_alu 0xfffe
	v_add_co_ci_u32_e32 v88, vcc_lo, 0, v88, vcc_lo
	s_or_b32 vcc_lo, s2, s1
	v_cmp_eq_u32_e64 s12, 3, v93
	s_wait_alu 0xfffe
	v_add_co_ci_u32_e32 v71, vcc_lo, 0, v71, vcc_lo
	s_or_b32 vcc_lo, s6, s5
	v_cmp_eq_u32_e64 s22, 3, v100
	s_wait_alu 0xfffe
	v_add_co_ci_u32_e32 v92, vcc_lo, 0, v92, vcc_lo
	s_or_b32 vcc_lo, s10, s9
	v_lshrrev_b32_e32 v76, 2, v76
	s_wait_alu 0xfffe
	v_add_co_ci_u32_e32 v43, vcc_lo, 0, v43, vcc_lo
	s_or_b32 vcc_lo, s4, s3
	v_cmp_gt_i32_e64 s0, 1, v4
	s_wait_alu 0xfffe
	v_add_co_ci_u32_e32 v90, vcc_lo, 0, v90, vcc_lo
	s_or_b32 vcc_lo, s8, s7
	v_and_b32_e32 v101, 7, v77
	s_wait_alu 0xfffe
	v_add_co_ci_u32_e32 v70, vcc_lo, 0, v70, vcc_lo
	v_cmp_gt_i32_e32 vcc_lo, 31, v102
	v_cmp_ne_u32_e64 s1, 0, v58
	s_wait_alu 0xfffd
	v_cndmask_b32_e32 v88, 0x7c00, v88, vcc_lo
	v_cmp_gt_i32_e32 vcc_lo, 31, v48
	s_wait_alu 0xfffd
	v_cndmask_b32_e32 v71, 0x7c00, v71, vcc_lo
	v_cmp_gt_i32_e32 vcc_lo, 31, v54
	;; [unrolled: 3-line block ×5, first 2 shown]
	s_wait_alu 0xfffd
	v_cndmask_b32_e32 v70, 0x7c00, v70, vcc_lo
	s_or_b32 vcc_lo, s12, s11
	s_wait_alu 0xfffe
	v_add_co_ci_u32_e32 v49, vcc_lo, 0, v49, vcc_lo
	s_or_b32 vcc_lo, s14, s13
	s_wait_alu 0xfffe
	v_add_co_ci_u32_e32 v50, vcc_lo, 0, v50, vcc_lo
	;; [unrolled: 3-line block ×6, first 2 shown]
	v_cmp_eq_u32_e32 vcc_lo, 0x40f, v102
	s_wait_alu 0xfffd
	v_cndmask_b32_e32 v44, v88, v44, vcc_lo
	v_cmp_eq_u32_e32 vcc_lo, 0x40f, v48
	s_delay_alu instid0(VALU_DEP_2) | instskip(SKIP_3) | instid1(VALU_DEP_2)
	v_and_or_b32 v30, 0x8000, v30, v44
	s_wait_alu 0xfffd
	v_cndmask_b32_e32 v46, v71, v46, vcc_lo
	v_cmp_eq_u32_e32 vcc_lo, 0x40f, v51
	v_and_or_b32 v31, 0x8000, v31, v46
	s_wait_alu 0xfffd
	v_cndmask_b32_e32 v45, v90, v45, vcc_lo
	v_cmp_eq_u32_e32 vcc_lo, 0x40f, v54
	s_delay_alu instid0(VALU_DEP_2) | instskip(SKIP_3) | instid1(VALU_DEP_2)
	v_and_or_b32 v32, 0x8000, v32, v45
	s_wait_alu 0xfffd
	v_cndmask_b32_e32 v48, v92, v52, vcc_lo
	v_cmp_eq_u32_e32 vcc_lo, 0x40f, v74
	v_and_or_b32 v33, 0x8000, v33, v48
	s_wait_alu 0xfffd
	v_cndmask_b32_e32 v51, v70, v53, vcc_lo
	v_cmp_gt_i32_e32 vcc_lo, 31, v86
	s_delay_alu instid0(VALU_DEP_2)
	v_and_or_b32 v34, 0x8000, v34, v51
	s_wait_alu 0xfffd
	v_cndmask_b32_e32 v49, 0x7c00, v49, vcc_lo
	v_cmp_gt_i32_e32 vcc_lo, 31, v87
	s_wait_alu 0xfffd
	v_cndmask_b32_e32 v50, 0x7c00, v50, vcc_lo
	v_cmp_gt_i32_e32 vcc_lo, 31, v89
	;; [unrolled: 3-line block ×5, first 2 shown]
	s_wait_alu 0xfffd
	v_cndmask_b32_e32 v59, 0x7c00, v76, vcc_lo
	v_cmp_eq_u32_e32 vcc_lo, 0x40f, v75
	s_wait_alu 0xfffd
	v_cndmask_b32_e32 v43, v43, v55, vcc_lo
	v_cmp_eq_u32_e32 vcc_lo, 0x40f, v86
	s_delay_alu instid0(VALU_DEP_2) | instskip(SKIP_3) | instid1(VALU_DEP_2)
	v_and_or_b32 v35, 0x8000, v35, v43
	s_wait_alu 0xfffd
	v_cndmask_b32_e32 v49, v49, v60, vcc_lo
	v_cmp_eq_u32_e32 vcc_lo, 0x40f, v87
	v_and_or_b32 v18, 0x8000, v18, v49
	s_wait_alu 0xfffd
	v_cndmask_b32_e32 v44, v50, v61, vcc_lo
	v_cmp_eq_u32_e32 vcc_lo, 0x40f, v89
	s_delay_alu instid0(VALU_DEP_3) | instskip(NEXT) | instid1(VALU_DEP_3)
	v_and_b32_e32 v18, 0xffff, v18
	v_and_or_b32 v36, 0x8000, v36, v44
	s_wait_alu 0xfffd
	v_cndmask_b32_e32 v46, v52, v47, vcc_lo
	v_cmp_eq_u32_e32 vcc_lo, 0x40f, v91
	v_lshl_or_b32 v18, v30, 16, v18
	v_and_b32_e32 v36, 0xffff, v36
	s_delay_alu instid0(VALU_DEP_4)
	v_and_or_b32 v37, 0x8000, v37, v46
	s_wait_alu 0xfffd
	v_cndmask_b32_e32 v45, v53, v56, vcc_lo
	v_cmp_eq_u32_e32 vcc_lo, 0x40f, v95
	v_lshl_or_b32 v30, v31, 16, v36
	v_and_b32_e32 v37, 0xffff, v37
	s_delay_alu instid0(VALU_DEP_4)
	;; [unrolled: 7-line block ×3, first 2 shown]
	v_and_or_b32 v40, 0x8000, v40, v47
	s_wait_alu 0xfffd
	v_cndmask_b32_e32 v42, v59, v42, vcc_lo
	v_cmp_ne_u32_e32 vcc_lo, 0, v39
	v_lshl_or_b32 v32, v33, 16, v38
	v_and_b32_e32 v40, 0xffff, v40
	s_delay_alu instid0(VALU_DEP_4) | instskip(NEXT) | instid1(VALU_DEP_2)
	v_and_or_b32 v41, 0x8000, v41, v42
	v_lshl_or_b32 v33, v34, 16, v40
	s_clause 0x4
	global_store_b32 v[10:11], v18, off
	global_store_b32 v[12:13], v30, off
	;; [unrolled: 1-line block ×5, first 2 shown]
	v_lshl_or_b32 v10, v4, 12, v24
	s_wait_alu 0xfffd
	v_cndmask_b32_e64 v11, 0, 1, vcc_lo
	v_lshrrev_b32_e32 v12, 8, v17
	v_bfe_u32 v13, v17, 20, 11
	v_cmp_lt_i32_e32 vcc_lo, 5, v101
	v_cndmask_b32_e64 v10, v10, v85, s0
	v_cmp_eq_u32_e64 s0, 3, v101
	v_and_or_b32 v18, 0xffe, v12, v11
	v_sub_nc_u32_e32 v11, 0x3f1, v13
	v_lshrrev_b32_e32 v12, 2, v77
	v_and_b32_e32 v20, 7, v10
	s_or_b32 vcc_lo, s0, vcc_lo
	v_or_b32_e32 v21, 0x1000, v18
	v_med3_i32 v11, v11, 0, 13
	s_wait_alu 0xfffe
	v_add_co_ci_u32_e32 v12, vcc_lo, 0, v12, vcc_lo
	v_cmp_lt_i32_e32 vcc_lo, 5, v20
	v_cmp_eq_u32_e64 s0, 3, v20
	v_lshrrev_b32_e32 v10, 2, v10
	v_lshrrev_b32_e32 v20, v11, v21
	v_cndmask_b32_e64 v22, 0, 1, s1
	v_lshrrev_b32_e32 v17, 16, v17
	s_or_b32 vcc_lo, s0, vcc_lo
	v_and_b32_e32 v41, 0xffff, v41
	s_wait_alu 0xfffe
	v_add_co_ci_u32_e32 v23, vcc_lo, 0, v10, vcc_lo
	v_lshlrev_b32_e32 v28, v11, v20
	v_cmp_gt_i32_e32 vcc_lo, 31, v16
	v_mul_f64_e32 v[10:11], s[28:29], v[26:27]
	v_add_nc_u32_e32 v26, 0xfffffc10, v13
	v_lshl_or_b32 v22, v22, 9, 0x7c00
	v_lshl_or_b32 v34, v35, 16, v41
	s_wait_alu 0xfffd
	v_cndmask_b32_e32 v12, 0x7c00, v12, vcc_lo
	v_cmp_ne_u32_e32 vcc_lo, v28, v21
	global_store_b32 v[7:8], v34, off
	s_wait_alu 0xfffd
	v_cndmask_b32_e64 v21, 0, 1, vcc_lo
	v_cmp_gt_i32_e32 vcc_lo, 31, v4
	s_delay_alu instid0(VALU_DEP_2)
	v_or_b32_e32 v20, v20, v21
	s_wait_alu 0xfffd
	v_cndmask_b32_e32 v13, 0x7c00, v23, vcc_lo
	v_cmp_ne_u32_e32 vcc_lo, 0, v14
	v_lshl_or_b32 v21, v26, 12, v18
	v_lshrrev_b32_e32 v14, 8, v15
	v_bfe_u32 v23, v15, 20, 11
	v_lshrrev_b32_e32 v15, 16, v15
	s_wait_alu 0xfffd
	v_cndmask_b32_e64 v2, 0, 1, vcc_lo
	v_cmp_ne_u32_e32 vcc_lo, 0, v24
	v_sub_nc_u32_e32 v27, 0x3f1, v23
	s_delay_alu instid0(VALU_DEP_3)
	v_and_or_b32 v14, 0xffe, v14, v2
	s_wait_alu 0xfffd
	v_cndmask_b32_e64 v24, 0, 1, vcc_lo
	v_cmp_gt_i32_e32 vcc_lo, 1, v26
	v_cvt_f64_f32_e32 v[1:2], v1
	v_med3_i32 v27, v27, 0, 13
	s_wait_alu 0xfffd
	v_cndmask_b32_e32 v20, v21, v20, vcc_lo
	v_cmp_eq_u32_e32 vcc_lo, 0x40f, v16
	v_lshl_or_b32 v21, v24, 9, 0x7c00
	v_or_b32_e32 v24, 0x1000, v14
	v_lshrrev_b32_e32 v16, 16, v25
	v_lshrrev_b32_e32 v25, 16, v9
	s_wait_alu 0xfffd
	v_cndmask_b32_e32 v12, v12, v22, vcc_lo
	v_cmp_eq_u32_e32 vcc_lo, 0x40f, v4
	v_and_b32_e32 v22, 7, v20
	v_and_or_b32 v10, 0x1ff, v11, v10
	s_delay_alu instid0(VALU_DEP_4)
	v_and_or_b32 v16, 0x8000, v16, v12
	s_wait_alu 0xfffd
	v_cndmask_b32_e32 v4, v13, v21, vcc_lo
	v_lshrrev_b32_e32 v13, v27, v24
	v_cmp_lt_i32_e32 vcc_lo, 5, v22
	v_mul_f16_e32 v21, v83, v25
	v_cmp_eq_u32_e64 s0, 3, v22
	v_lshrrev_b32_e32 v12, 2, v20
	v_lshlrev_b32_e32 v22, v27, v13
	v_bfe_u32 v27, v11, 20, 11
	v_fmac_f16_e32 v21, v68, v9
	s_or_b32 vcc_lo, s0, vcc_lo
	v_mul_f16_e32 v9, v83, v9
	v_cmp_ne_u32_e64 s1, v22, v24
	v_add_nc_u32_e32 v22, 0xfffffc10, v23
	v_cvt_f32_f16_e32 v21, v21
	s_wait_alu 0xfffe
	v_add_co_ci_u32_e32 v23, vcc_lo, 0, v12, vcc_lo
	s_wait_alu 0xf1ff
	v_cndmask_b32_e64 v20, 0, 1, s1
	v_cmp_ne_u32_e32 vcc_lo, 0, v10
	v_lshl_or_b32 v24, v22, 12, v14
	v_and_or_b32 v4, 0x8000, v19, v4
	v_fma_f16 v9, v68, v25, -v9
	v_or_b32_e32 v20, v13, v20
	v_cvt_f64_f32_e32 v[12:13], v21
	s_wait_alu 0xfffd
	v_cndmask_b32_e64 v10, 0, 1, vcc_lo
	v_cmp_ne_u32_e32 vcc_lo, 0, v18
	v_mul_f64_e32 v[1:2], s[28:29], v[1:2]
	v_lshrrev_b32_e32 v21, 8, v11
	v_add_nc_u32_e32 v25, 0xfffffc10, v27
	v_and_b32_e32 v16, 0xffff, v16
	s_wait_alu 0xfffd
	v_cndmask_b32_e64 v18, 0, 1, vcc_lo
	v_cmp_gt_i32_e32 vcc_lo, 1, v22
	v_and_or_b32 v21, 0xffe, v21, v10
	v_sub_nc_u32_e32 v10, 0x3f1, v27
	v_lshl_or_b32 v4, v4, 16, v16
	v_lshl_or_b32 v18, v18, 9, 0x7c00
	s_wait_alu 0xfffd
	v_cndmask_b32_e32 v20, v24, v20, vcc_lo
	v_cmp_gt_i32_e32 vcc_lo, 31, v26
	v_or_b32_e32 v24, 0x1000, v21
	v_med3_i32 v10, v10, 0, 13
	v_lshrrev_b32_e32 v11, 16, v11
	s_wait_alu 0xfffd
	v_dual_cndmask_b32 v23, 0x7c00, v23 :: v_dual_and_b32 v28, 7, v20
	v_cmp_eq_u32_e32 vcc_lo, 0x40f, v26
	v_lshrrev_b32_e32 v20, 2, v20
	v_lshrrev_b32_e32 v19, v10, v24
	s_delay_alu instid0(VALU_DEP_4)
	v_cmp_eq_u32_e64 s0, 3, v28
	s_wait_alu 0xfffd
	v_cndmask_b32_e32 v18, v23, v18, vcc_lo
	v_cmp_lt_i32_e32 vcc_lo, 5, v28
	v_lshlrev_b32_e32 v10, v10, v19
	v_cvt_f32_f16_e32 v23, v9
	s_delay_alu instid0(VALU_DEP_4)
	v_and_or_b32 v17, 0x8000, v17, v18
	s_or_b32 vcc_lo, s0, vcc_lo
	s_wait_alu 0xfffe
	v_add_co_ci_u32_e32 v20, vcc_lo, 0, v20, vcc_lo
	v_cmp_ne_u32_e32 vcc_lo, 0, v14
	s_wait_alu 0xfffd
	v_cndmask_b32_e64 v14, 0, 1, vcc_lo
	v_cmp_ne_u32_e32 vcc_lo, v10, v24
	v_mul_f64_e32 v[9:10], s[28:29], v[12:13]
	v_cvt_f64_f32_e32 v[12:13], v23
	v_and_or_b32 v1, 0x1ff, v2, v1
	v_lshl_or_b32 v14, v14, 9, 0x7c00
	s_wait_alu 0xfffd
	v_cndmask_b32_e64 v24, 0, 1, vcc_lo
	v_cmp_gt_i32_e32 vcc_lo, 31, v22
	v_lshl_or_b32 v23, v25, 12, v21
	v_lshrrev_b32_e32 v18, 8, v2
	s_delay_alu instid0(VALU_DEP_4)
	v_or_b32_e32 v19, v19, v24
	s_wait_alu 0xfffd
	v_cndmask_b32_e32 v20, 0x7c00, v20, vcc_lo
	v_cmp_eq_u32_e32 vcc_lo, 0x40f, v22
	v_lshrrev_b32_e32 v22, 16, v6
	s_wait_alu 0xfffd
	s_delay_alu instid0(VALU_DEP_3) | instskip(SKIP_3) | instid1(VALU_DEP_4)
	v_cndmask_b32_e32 v14, v20, v14, vcc_lo
	v_cmp_ne_u32_e32 vcc_lo, 0, v1
	v_bfe_u32 v20, v2, 20, 11
	v_lshrrev_b32_e32 v2, 16, v2
	v_and_or_b32 v14, 0x8000, v15, v14
	s_wait_alu 0xfffd
	v_cndmask_b32_e64 v1, 0, 1, vcc_lo
	v_cmp_gt_i32_e32 vcc_lo, 1, v25
	v_and_b32_e32 v15, 0xffff, v17
	v_sub_nc_u32_e32 v16, 0x3f1, v20
	s_delay_alu instid0(VALU_DEP_4)
	v_and_or_b32 v1, 0xffe, v18, v1
	s_wait_alu 0xfffd
	v_cndmask_b32_e32 v19, v23, v19, vcc_lo
	v_lshl_or_b32 v23, v14, 16, v15
	v_mul_f16_e32 v14, v82, v22
	v_add_co_u32 v7, vcc_lo, v7, s26
	s_delay_alu instid0(VALU_DEP_4)
	v_and_b32_e32 v17, 7, v19
	s_wait_alu 0xfffd
	v_add_co_ci_u32_e32 v8, vcc_lo, s27, v8, vcc_lo
	v_or_b32_e32 v18, 0x1000, v1
	v_med3_i32 v16, v16, 0, 13
	v_cmp_lt_i32_e32 vcc_lo, 5, v17
	v_cmp_eq_u32_e64 s0, 3, v17
	v_fmac_f16_e32 v14, v67, v6
	v_lshrrev_b32_e32 v15, 2, v19
	v_and_or_b32 v9, 0x1ff, v10, v9
	v_mul_f64_e32 v[12:13], s[28:29], v[12:13]
	v_lshrrev_b32_e32 v24, v16, v18
	s_or_b32 vcc_lo, s0, vcc_lo
	v_cvt_f32_f16_e32 v14, v14
	s_wait_alu 0xfffe
	v_add_co_ci_u32_e32 v17, vcc_lo, 0, v15, vcc_lo
	v_cmp_ne_u32_e32 vcc_lo, 0, v9
	v_lshlrev_b32_e32 v16, v16, v24
	v_cvt_f64_f32_e32 v[14:15], v14
	v_lshrrev_b32_e32 v19, 8, v10
	v_bfe_u32 v26, v10, 20, 11
	s_wait_alu 0xfffd
	v_cndmask_b32_e64 v9, 0, 1, vcc_lo
	v_cmp_ne_u32_e32 vcc_lo, v16, v18
	v_add_nc_u32_e32 v18, 0xfffffc10, v20
	v_mul_f16_e32 v6, v82, v6
	global_store_b32 v[7:8], v4, off
	v_and_or_b32 v19, 0xffe, v19, v9
	v_sub_nc_u32_e32 v9, 0x3f1, v26
	s_wait_alu 0xfffd
	v_cndmask_b32_e64 v16, 0, 1, vcc_lo
	v_cmp_ne_u32_e32 vcc_lo, 0, v21
	v_fma_f16 v4, v67, v22, -v6
	v_or_b32_e32 v21, 0x1000, v19
	v_med3_i32 v9, v9, 0, 13
	v_or_b32_e32 v16, v24, v16
	s_wait_alu 0xfffd
	v_cndmask_b32_e64 v20, 0, 1, vcc_lo
	v_cmp_gt_i32_e32 vcc_lo, 31, v25
	v_lshl_or_b32 v24, v18, 12, v1
	v_lshrrev_b32_e32 v28, v9, v21
	v_cvt_f32_f16_e32 v4, v4
	v_lshl_or_b32 v20, v20, 9, 0x7c00
	s_wait_alu 0xfffd
	v_cndmask_b32_e32 v27, 0x7c00, v17, vcc_lo
	v_cmp_gt_i32_e32 vcc_lo, 1, v18
	v_lshlrev_b32_e32 v9, v9, v28
	v_lshrrev_b32_e32 v10, 16, v10
	s_wait_alu 0xfffd
	v_cndmask_b32_e32 v24, v24, v16, vcc_lo
	v_add_co_u32 v16, vcc_lo, v7, s26
	v_cmp_ne_u32_e64 s0, v9, v21
	s_wait_alu 0xfffd
	v_add_co_ci_u32_e32 v17, vcc_lo, s27, v8, vcc_lo
	v_cmp_eq_u32_e32 vcc_lo, 0x40f, v25
	v_and_b32_e32 v25, 7, v24
	v_and_or_b32 v8, 0x1ff, v13, v12
	s_wait_alu 0xf1ff
	v_cndmask_b32_e64 v6, 0, 1, s0
	v_lshrrev_b32_e32 v21, 2, v24
	s_wait_alu 0xfffd
	v_cndmask_b32_e32 v20, v27, v20, vcc_lo
	v_cmp_lt_i32_e32 vcc_lo, 5, v25
	v_cmp_eq_u32_e64 s0, 3, v25
	v_cmp_ne_u32_e64 s1, 0, v8
	v_add_nc_u32_e32 v12, 0xfffffc10, v26
	v_or_b32_e32 v22, v28, v6
	v_cvt_f64_f32_e32 v[6:7], v4
	v_mul_f64_e32 v[8:9], s[28:29], v[14:15]
	s_or_b32 vcc_lo, s0, vcc_lo
	v_cndmask_b32_e64 v4, 0, 1, s1
	v_lshrrev_b32_e32 v14, 8, v13
	v_bfe_u32 v15, v13, 20, 11
	s_wait_alu 0xfffe
	v_add_co_ci_u32_e32 v21, vcc_lo, 0, v21, vcc_lo
	v_lshl_or_b32 v24, v12, 12, v19
	v_cmp_gt_i32_e32 vcc_lo, 1, v12
	v_and_or_b32 v4, 0xffe, v14, v4
	v_sub_nc_u32_e32 v14, 0x3f1, v15
	global_store_b32 v[16:17], v23, off
	v_cmp_eq_u32_e64 s1, 0x40f, v18
	s_wait_alu 0xfffd
	v_cndmask_b32_e32 v22, v24, v22, vcc_lo
	v_cmp_ne_u32_e32 vcc_lo, 0, v1
	v_or_b32_e32 v24, 0x1000, v4
	v_med3_i32 v14, v14, 0, 13
	v_and_or_b32 v11, 0x8000, v11, v20
	v_and_b32_e32 v23, 7, v22
	s_wait_alu 0xfffd
	v_cndmask_b32_e64 v1, 0, 1, vcc_lo
	v_cmp_gt_i32_e32 vcc_lo, 31, v18
	v_lshrrev_b32_e32 v25, v14, v24
	v_lshrrev_b32_e32 v18, 2, v22
	v_cmp_eq_u32_e64 s0, 3, v23
	v_lshl_or_b32 v1, v1, 9, 0x7c00
	s_wait_alu 0xfffd
	v_cndmask_b32_e32 v21, 0x7c00, v21, vcc_lo
	v_cmp_lt_i32_e32 vcc_lo, 5, v23
	v_lshlrev_b32_e32 v14, v14, v25
	v_lshrrev_b32_e32 v13, 16, v13
	v_and_b32_e32 v11, 0xffff, v11
	s_wait_alu 0xf1ff
	v_cndmask_b32_e64 v1, v21, v1, s1
	s_or_b32 vcc_lo, s0, vcc_lo
	v_lshrrev_b32_e32 v21, 16, v5
	s_wait_alu 0xfffe
	v_add_co_ci_u32_e32 v18, vcc_lo, 0, v18, vcc_lo
	v_cmp_ne_u32_e32 vcc_lo, v14, v24
	v_and_or_b32 v20, 0x8000, v2, v1
	v_mul_f64_e32 v[1:2], s[28:29], v[6:7]
	v_and_or_b32 v6, 0x1ff, v9, v8
	v_add_nc_u32_e32 v8, 0xfffffc10, v15
	s_wait_alu 0xfffd
	v_cndmask_b32_e64 v14, 0, 1, vcc_lo
	v_cmp_gt_i32_e32 vcc_lo, 31, v12
	v_mul_f16_e32 v7, v81, v21
	v_lshrrev_b32_e32 v22, 8, v9
	v_bfe_u32 v23, v9, 20, 11
	v_or_b32_e32 v14, v25, v14
	s_wait_alu 0xfffd
	v_cndmask_b32_e32 v18, 0x7c00, v18, vcc_lo
	v_cmp_ne_u32_e32 vcc_lo, 0, v19
	v_lshl_or_b32 v19, v8, 12, v4
	v_fmac_f16_e32 v7, v66, v5
	v_mul_f16_e32 v5, v81, v5
	v_lshl_or_b32 v20, v20, 16, v11
	s_wait_alu 0xfffd
	v_cndmask_b32_e64 v15, 0, 1, vcc_lo
	v_cmp_ne_u32_e32 vcc_lo, 0, v6
	v_cvt_f32_f16_e32 v7, v7
	v_fma_f16 v5, v66, v21, -v5
	v_lshrrev_b32_e32 v26, 16, v3
	v_lshl_or_b32 v15, v15, 9, 0x7c00
	s_wait_alu 0xfffd
	v_cndmask_b32_e64 v6, 0, 1, vcc_lo
	v_cmp_gt_i32_e32 vcc_lo, 1, v8
	v_cvt_f32_f16_e32 v5, v5
	s_wait_alu 0xfffd
	v_cndmask_b32_e32 v14, v19, v14, vcc_lo
	v_cmp_eq_u32_e32 vcc_lo, 0x40f, v12
	v_and_or_b32 v19, 0xffe, v22, v6
	v_cvt_f64_f32_e32 v[6:7], v7
	v_sub_nc_u32_e32 v22, 0x3f1, v23
	v_and_b32_e32 v24, 7, v14
	s_wait_alu 0xfffd
	v_cndmask_b32_e32 v12, v18, v15, vcc_lo
	v_lshrrev_b32_e32 v14, 2, v14
	v_or_b32_e32 v15, 0x1000, v19
	v_med3_i32 v18, v22, 0, 13
	v_cmp_lt_i32_e32 vcc_lo, 5, v24
	v_cmp_eq_u32_e64 s0, 3, v24
	v_and_or_b32 v1, 0x1ff, v2, v1
	v_lshrrev_b32_e32 v24, 8, v2
	v_lshrrev_b32_e32 v22, v18, v15
	v_bfe_u32 v25, v2, 20, 11
	s_or_b32 vcc_lo, s0, vcc_lo
	v_and_or_b32 v10, 0x8000, v10, v12
	s_wait_alu 0xfffe
	v_add_co_ci_u32_e32 v14, vcc_lo, 0, v14, vcc_lo
	v_cmp_ne_u32_e32 vcc_lo, 0, v4
	v_lshlrev_b32_e32 v18, v18, v22
	v_cvt_f64_f32_e32 v[4:5], v5
	v_lshrrev_b32_e32 v2, 16, v2
	s_wait_alu 0xfffd
	v_cndmask_b32_e64 v21, 0, 1, vcc_lo
	v_cmp_gt_i32_e32 vcc_lo, 31, v8
	s_delay_alu instid0(VALU_DEP_2)
	v_lshl_or_b32 v21, v21, 9, 0x7c00
	s_wait_alu 0xfffd
	v_cndmask_b32_e32 v14, 0x7c00, v14, vcc_lo
	v_cmp_ne_u32_e32 vcc_lo, 0, v1
	s_wait_alu 0xfffd
	v_cndmask_b32_e64 v1, 0, 1, vcc_lo
	v_cmp_ne_u32_e32 vcc_lo, v18, v15
	v_add_nc_u32_e32 v18, 0xfffffc10, v23
	v_sub_nc_u32_e32 v23, 0x3f1, v25
	v_mul_f64_e32 v[6:7], s[28:29], v[6:7]
	v_and_or_b32 v1, 0xffe, v24, v1
	s_wait_alu 0xfffd
	v_cndmask_b32_e64 v15, 0, 1, vcc_lo
	v_cmp_eq_u32_e32 vcc_lo, 0x40f, v8
	v_med3_i32 v23, v23, 0, 13
	v_or_b32_e32 v24, 0x1000, v1
	s_delay_alu instid0(VALU_DEP_4)
	v_or_b32_e32 v15, v22, v15
	v_lshl_or_b32 v22, v18, 12, v19
	s_wait_alu 0xfffd
	v_cndmask_b32_e32 v8, v14, v21, vcc_lo
	v_cmp_gt_i32_e32 vcc_lo, 1, v18
	v_lshrrev_b32_e32 v14, v23, v24
	s_delay_alu instid0(VALU_DEP_3) | instskip(SKIP_1) | instid1(VALU_DEP_2)
	v_and_or_b32 v8, 0x8000, v13, v8
	s_wait_alu 0xfffd
	v_dual_cndmask_b32 v12, v22, v15 :: v_dual_lshlrev_b32 v21, v23, v14
	v_lshrrev_b32_e32 v22, 16, v0
	v_and_b32_e32 v15, 0xffff, v10
	v_add_co_u32 v10, vcc_lo, v16, s26
	s_delay_alu instid0(VALU_DEP_4)
	v_and_b32_e32 v13, 7, v12
	v_cmp_ne_u32_e64 s1, v21, v24
	s_wait_alu 0xfffd
	v_add_co_ci_u32_e32 v11, vcc_lo, s27, v17, vcc_lo
	v_mul_f16_e32 v16, v80, v22
	v_cmp_lt_i32_e32 vcc_lo, 5, v13
	v_cmp_eq_u32_e64 s0, 3, v13
	v_lshrrev_b32_e32 v12, 2, v12
	s_wait_alu 0xf1ff
	v_cndmask_b32_e64 v13, 0, 1, s1
	v_add_nc_u32_e32 v17, 0xfffffc10, v25
	v_fmac_f16_e32 v16, v65, v0
	s_or_b32 vcc_lo, s0, vcc_lo
	v_mul_f64_e32 v[4:5], s[28:29], v[4:5]
	s_wait_alu 0xfffe
	v_add_co_ci_u32_e32 v21, vcc_lo, 0, v12, vcc_lo
	v_or_b32_e32 v13, v14, v13
	v_lshl_or_b32 v14, v17, 12, v1
	v_cmp_gt_i32_e32 vcc_lo, 1, v17
	v_cvt_f32_f16_e32 v16, v16
	v_lshl_or_b32 v23, v8, 16, v15
	v_and_or_b32 v6, 0x1ff, v7, v6
	v_mul_f16_e32 v0, v80, v0
	s_wait_alu 0xfffd
	v_cndmask_b32_e32 v14, v14, v13, vcc_lo
	v_cmp_ne_u32_e32 vcc_lo, 0, v19
	v_cvt_f64_f32_e32 v[12:13], v16
	v_cmp_ne_u32_e64 s1, 0, v6
	v_lshrrev_b32_e32 v24, 16, v9
	v_and_b32_e32 v19, 7, v14
	s_wait_alu 0xfffd
	v_cndmask_b32_e64 v16, 0, 1, vcc_lo
	v_cmp_gt_i32_e32 vcc_lo, 31, v18
	v_lshrrev_b32_e32 v14, 2, v14
	s_wait_alu 0xf1ff
	v_cndmask_b32_e64 v6, 0, 1, s1
	v_cmp_eq_u32_e64 s0, 3, v19
	v_lshl_or_b32 v15, v16, 9, 0x7c00
	s_wait_alu 0xfffd
	v_cndmask_b32_e32 v8, 0x7c00, v21, vcc_lo
	v_cmp_lt_i32_e32 vcc_lo, 5, v19
	v_lshrrev_b32_e32 v16, 8, v7
	v_bfe_u32 v19, v7, 20, 11
	v_fma_f16 v0, v65, v22, -v0
	s_or_b32 vcc_lo, s0, vcc_lo
	s_delay_alu instid0(VALU_DEP_3)
	v_and_or_b32 v6, 0xffe, v16, v6
	s_wait_alu 0xfffe
	v_add_co_ci_u32_e32 v14, vcc_lo, 0, v14, vcc_lo
	v_cmp_ne_u32_e32 vcc_lo, 0, v1
	v_sub_nc_u32_e32 v16, 0x3f1, v19
	v_or_b32_e32 v21, 0x1000, v6
	v_cvt_f32_f16_e32 v0, v0
	v_add_nc_u32_e32 v19, 0xfffffc10, v19
	s_wait_alu 0xfffd
	v_cndmask_b32_e64 v1, 0, 1, vcc_lo
	v_cmp_gt_i32_e32 vcc_lo, 31, v17
	v_med3_i32 v16, v16, 0, 13
	v_and_or_b32 v4, 0x1ff, v5, v4
	v_lshl_or_b32 v22, v19, 12, v6
	v_lshl_or_b32 v1, v1, 9, 0x7c00
	s_wait_alu 0xfffd
	v_cndmask_b32_e32 v14, 0x7c00, v14, vcc_lo
	v_cmp_eq_u32_e32 vcc_lo, 0x40f, v18
	v_lshrrev_b32_e32 v25, v16, v21
	v_cmp_eq_u32_e64 s1, 0x40f, v19
	s_wait_alu 0xfffd
	v_cndmask_b32_e32 v18, v8, v15, vcc_lo
	v_cmp_eq_u32_e32 vcc_lo, 0x40f, v17
	v_lshlrev_b32_e32 v15, v16, v25
	v_mul_f64_e32 v[8:9], s[28:29], v[12:13]
	v_bfe_u32 v17, v5, 20, 11
	v_cvt_f64_f32_e32 v[12:13], v0
	s_wait_alu 0xfffd
	v_cndmask_b32_e32 v1, v14, v1, vcc_lo
	v_cmp_ne_u32_e32 vcc_lo, 0, v4
	v_lshrrev_b32_e32 v14, 8, v5
	v_and_or_b32 v18, 0x8000, v24, v18
	v_lshrrev_b32_e32 v5, 16, v5
	v_and_or_b32 v2, 0x8000, v2, v1
	s_wait_alu 0xfffd
	v_cndmask_b32_e64 v4, 0, 1, vcc_lo
	v_cmp_ne_u32_e32 vcc_lo, v15, v21
	v_and_b32_e32 v18, 0xffff, v18
	s_delay_alu instid0(VALU_DEP_3)
	v_and_or_b32 v4, 0xffe, v14, v4
	v_sub_nc_u32_e32 v14, 0x3f1, v17
	s_wait_alu 0xfffd
	v_cndmask_b32_e64 v16, 0, 1, vcc_lo
	v_lshl_or_b32 v2, v2, 16, v18
	v_lshrrev_b32_e32 v18, 16, v7
	v_or_b32_e32 v21, 0x1000, v4
	v_med3_i32 v0, v14, 0, 13
	v_add_co_u32 v14, vcc_lo, v10, s26
	s_wait_alu 0xfffd
	v_add_co_ci_u32_e32 v15, vcc_lo, s27, v11, vcc_lo
	v_or_b32_e32 v16, v25, v16
	v_cmp_gt_i32_e32 vcc_lo, 1, v19
	v_lshrrev_b32_e32 v25, v0, v21
	global_store_b32 v[10:11], v20, off
	global_store_b32 v[14:15], v23, off
	s_wait_alu 0xfffd
	v_cndmask_b32_e32 v16, v22, v16, vcc_lo
	v_mul_f16_e32 v22, v79, v26
	v_lshlrev_b32_e32 v24, v0, v25
	v_mad_co_u64_u32 v[0:1], null, 0xffffd63c, s24, v[14:15]
	s_delay_alu instid0(VALU_DEP_4) | instskip(NEXT) | instid1(VALU_DEP_4)
	v_and_b32_e32 v27, 7, v16
	v_fmac_f16_e32 v22, v64, v3
	s_delay_alu instid0(VALU_DEP_4)
	v_cmp_ne_u32_e64 s0, v24, v21
	v_lshrrev_b32_e32 v16, 2, v16
	v_and_or_b32 v8, 0x1ff, v9, v8
	v_cmp_lt_i32_e32 vcc_lo, 5, v27
	v_cvt_f32_f16_e32 v10, v22
	s_wait_alu 0xf1ff
	v_cndmask_b32_e64 v14, 0, 1, s0
	v_cmp_eq_u32_e64 s0, 3, v27
	v_add_nc_u32_e32 v15, 0xfffffc10, v17
	v_mul_f64_e32 v[12:13], s[28:29], v[12:13]
	v_cvt_f64_f32_e32 v[10:11], v10
	v_or_b32_e32 v14, v25, v14
	s_or_b32 vcc_lo, s0, vcc_lo
	v_lshl_or_b32 v17, v15, 12, v4
	s_wait_alu 0xfffe
	v_add_co_ci_u32_e32 v16, vcc_lo, 0, v16, vcc_lo
	v_cmp_ne_u32_e32 vcc_lo, 0, v8
	v_lshrrev_b32_e32 v20, 8, v9
	v_bfe_u32 v21, v9, 20, 11
	v_mul_f16_e32 v3, v79, v3
	v_add_nc_u32_e32 v1, s23, v1
	s_wait_alu 0xfffd
	v_cndmask_b32_e64 v8, 0, 1, vcc_lo
	v_cmp_gt_i32_e32 vcc_lo, 1, v15
	v_fma_f16 v3, v64, v26, -v3
	s_delay_alu instid0(VALU_DEP_3)
	v_and_or_b32 v8, 0xffe, v20, v8
	s_wait_alu 0xfffd
	v_cndmask_b32_e32 v14, v17, v14, vcc_lo
	v_cmp_ne_u32_e32 vcc_lo, 0, v6
	v_sub_nc_u32_e32 v17, 0x3f1, v21
	v_cvt_f32_f16_e32 v3, v3
	v_or_b32_e32 v22, 0x1000, v8
	v_and_b32_e32 v20, 7, v14
	s_wait_alu 0xfffd
	v_cndmask_b32_e64 v6, 0, 1, vcc_lo
	v_cmp_gt_i32_e32 vcc_lo, 31, v19
	v_med3_i32 v17, v17, 0, 13
	v_lshrrev_b32_e32 v14, 2, v14
	v_cmp_eq_u32_e64 s0, 3, v20
	v_lshl_or_b32 v6, v6, 9, 0x7c00
	s_wait_alu 0xfffd
	v_cndmask_b32_e32 v16, 0x7c00, v16, vcc_lo
	v_cmp_lt_i32_e32 vcc_lo, 5, v20
	v_lshrrev_b32_e32 v20, v17, v22
	s_delay_alu instid0(VALU_DEP_3) | instskip(SKIP_1) | instid1(VALU_DEP_2)
	v_cndmask_b32_e64 v16, v16, v6, s1
	s_or_b32 vcc_lo, s0, vcc_lo
	v_lshlrev_b32_e32 v17, v17, v20
	s_wait_alu 0xfffe
	v_add_co_ci_u32_e32 v14, vcc_lo, 0, v14, vcc_lo
	v_cmp_ne_u32_e32 vcc_lo, 0, v4
	v_mul_f64_e32 v[6:7], s[28:29], v[10:11]
	ds_load_b32 v10, v62 offset:13608
	v_and_or_b32 v12, 0x1ff, v13, v12
	v_and_or_b32 v16, 0x8000, v18, v16
	s_wait_alu 0xfffd
	v_cndmask_b32_e64 v4, 0, 1, vcc_lo
	v_cmp_ne_u32_e32 vcc_lo, v17, v22
	v_add_nc_u32_e32 v17, 0xfffffc10, v21
	v_lshrrev_b32_e32 v18, 8, v13
	v_and_b32_e32 v16, 0xffff, v16
	v_lshl_or_b32 v19, v4, 9, 0x7c00
	s_wait_alu 0xfffd
	v_cndmask_b32_e64 v11, 0, 1, vcc_lo
	v_cmp_gt_i32_e32 vcc_lo, 31, v15
	s_delay_alu instid0(VALU_DEP_2)
	v_or_b32_e32 v4, v20, v11
	s_wait_alu 0xfffd
	v_cndmask_b32_e32 v14, 0x7c00, v14, vcc_lo
	v_lshl_or_b32 v11, v17, 12, v8
	v_cmp_gt_i32_e32 vcc_lo, 1, v17
	v_bfe_u32 v20, v13, 20, 11
	v_lshrrev_b32_e32 v13, 16, v13
	s_wait_dscnt 0x0
	v_lshrrev_b32_e32 v21, 16, v10
	s_wait_alu 0xfffd
	v_cndmask_b32_e32 v11, v11, v4, vcc_lo
	v_cmp_ne_u32_e32 vcc_lo, 0, v12
	v_cvt_f64_f32_e32 v[3:4], v3
	s_wait_alu 0xfffd
	v_cndmask_b32_e64 v12, 0, 1, vcc_lo
	v_cmp_eq_u32_e32 vcc_lo, 0x40f, v15
	v_and_b32_e32 v15, 7, v11
	s_delay_alu instid0(VALU_DEP_3)
	v_and_or_b32 v12, 0xffe, v18, v12
	s_wait_alu 0xfffd
	v_cndmask_b32_e32 v14, v14, v19, vcc_lo
	v_sub_nc_u32_e32 v18, 0x3f1, v20
	v_mul_f16_e32 v19, v78, v21
	v_cmp_lt_i32_e32 vcc_lo, 5, v15
	v_or_b32_e32 v22, 0x1000, v12
	v_cmp_eq_u32_e64 s0, 3, v15
	v_med3_i32 v18, v18, 0, 13
	v_fmac_f16_e32 v19, v63, v10
	v_and_or_b32 v14, 0x8000, v5, v14
	v_lshrrev_b32_e32 v5, 2, v11
	s_or_b32 vcc_lo, s0, vcc_lo
	v_lshrrev_b32_e32 v11, v18, v22
	v_cvt_f32_f16_e32 v15, v19
	v_and_or_b32 v19, 0x1ff, v7, v6
	s_wait_alu 0xfffe
	v_add_co_ci_u32_e32 v23, vcc_lo, 0, v5, vcc_lo
	v_mul_f16_e32 v10, v78, v10
	v_cvt_f64_f32_e32 v[5:6], v15
	v_lshlrev_b32_e32 v15, v18, v11
	v_cmp_ne_u32_e32 vcc_lo, 0, v19
	v_add_nc_u32_e32 v20, 0xfffffc10, v20
	v_fma_f16 v10, v63, v21, -v10
	v_lshrrev_b32_e32 v19, 8, v7
	v_bfe_u32 v21, v7, 20, 11
	s_wait_alu 0xfffd
	v_cndmask_b32_e64 v18, 0, 1, vcc_lo
	v_cmp_ne_u32_e32 vcc_lo, v15, v22
	v_cvt_f32_f16_e32 v10, v10
	v_lshl_or_b32 v24, v20, 12, v12
	v_mul_f64_e32 v[3:4], s[28:29], v[3:4]
	v_and_or_b32 v18, 0xffe, v19, v18
	s_wait_alu 0xfffd
	v_cndmask_b32_e64 v15, 0, 1, vcc_lo
	v_cmp_ne_u32_e32 vcc_lo, 0, v8
	v_sub_nc_u32_e32 v19, 0x3f1, v21
	v_lshl_or_b32 v14, v14, 16, v16
	v_or_b32_e32 v22, 0x1000, v18
	v_or_b32_e32 v15, v11, v15
	v_cvt_f64_f32_e32 v[10:11], v10
	s_wait_alu 0xfffd
	v_cndmask_b32_e64 v8, 0, 1, vcc_lo
	v_cmp_gt_i32_e32 vcc_lo, 1, v20
	v_med3_i32 v19, v19, 0, 13
	v_lshrrev_b32_e32 v7, 16, v7
	s_delay_alu instid0(VALU_DEP_4) | instskip(SKIP_4) | instid1(VALU_DEP_3)
	v_lshl_or_b32 v8, v8, 9, 0x7c00
	s_wait_alu 0xfffd
	v_cndmask_b32_e32 v15, v24, v15, vcc_lo
	v_cmp_gt_i32_e32 vcc_lo, 31, v17
	v_lshrrev_b32_e32 v25, v19, v22
	v_and_b32_e32 v24, 7, v15
	s_wait_alu 0xfffd
	v_cndmask_b32_e32 v23, 0x7c00, v23, vcc_lo
	v_cmp_eq_u32_e32 vcc_lo, 0x40f, v17
	v_lshlrev_b32_e32 v19, v19, v25
	v_lshrrev_b32_e32 v17, 16, v9
	v_cmp_eq_u32_e64 s0, 3, v24
	s_wait_alu 0xfffd
	v_cndmask_b32_e32 v16, v23, v8, vcc_lo
	v_cmp_lt_i32_e32 vcc_lo, 5, v24
	v_lshrrev_b32_e32 v8, 2, v15
	v_mul_f64_e32 v[5:6], s[28:29], v[5:6]
	v_cmp_ne_u32_e64 s1, v19, v22
	v_add_nc_u32_e32 v15, 0xfffffc10, v21
	s_or_b32 vcc_lo, s0, vcc_lo
	v_and_or_b32 v16, 0x8000, v17, v16
	s_wait_alu 0xfffe
	v_add_co_ci_u32_e32 v8, vcc_lo, 0, v8, vcc_lo
	v_cmp_ne_u32_e32 vcc_lo, 0, v12
	v_cndmask_b32_e64 v9, 0, 1, s1
	v_lshl_or_b32 v21, v15, 12, v18
	v_and_or_b32 v3, 0x1ff, v4, v3
	v_bfe_u32 v23, v4, 20, 11
	s_wait_alu 0xfffd
	v_cndmask_b32_e64 v12, 0, 1, vcc_lo
	v_cmp_gt_i32_e32 vcc_lo, 31, v20
	v_or_b32_e32 v19, v25, v9
	v_and_b32_e32 v16, 0xffff, v16
	s_delay_alu instid0(VALU_DEP_4)
	v_lshl_or_b32 v12, v12, 9, 0x7c00
	s_wait_alu 0xfffd
	v_cndmask_b32_e32 v22, 0x7c00, v8, vcc_lo
	v_mul_f64_e32 v[8:9], s[28:29], v[10:11]
	v_add_co_u32 v10, vcc_lo, v0, s26
	s_wait_alu 0xfffd
	v_add_co_ci_u32_e32 v11, vcc_lo, s27, v1, vcc_lo
	v_cmp_gt_i32_e32 vcc_lo, 1, v15
	s_wait_alu 0xfffd
	v_cndmask_b32_e32 v19, v21, v19, vcc_lo
	v_cmp_ne_u32_e32 vcc_lo, 0, v3
	v_lshrrev_b32_e32 v21, 8, v4
	v_lshrrev_b32_e32 v4, 16, v4
	s_wait_alu 0xfffd
	v_cndmask_b32_e64 v3, 0, 1, vcc_lo
	v_cmp_eq_u32_e32 vcc_lo, 0x40f, v20
	v_and_b32_e32 v20, 7, v19
	v_lshrrev_b32_e32 v19, 2, v19
	v_and_or_b32 v5, 0x1ff, v6, v5
	v_and_or_b32 v3, 0xffe, v21, v3
	s_wait_alu 0xfffd
	v_cndmask_b32_e32 v12, v22, v12, vcc_lo
	v_sub_nc_u32_e32 v21, 0x3f1, v23
	v_cmp_lt_i32_e32 vcc_lo, 5, v20
	v_cmp_eq_u32_e64 s0, 3, v20
	v_bfe_u32 v22, v6, 20, 11
	v_and_or_b32 v12, 0x8000, v13, v12
	v_or_b32_e32 v13, 0x1000, v3
	v_med3_i32 v17, v21, 0, 13
	s_or_b32 vcc_lo, s0, vcc_lo
	v_lshrrev_b32_e32 v21, 8, v6
	s_wait_alu 0xfffe
	v_add_co_ci_u32_e32 v19, vcc_lo, 0, v19, vcc_lo
	v_lshrrev_b32_e32 v20, v17, v13
	v_cmp_ne_u32_e32 vcc_lo, 0, v5
	v_lshrrev_b32_e32 v6, 16, v6
	v_lshl_or_b32 v12, v12, 16, v16
	v_and_or_b32 v8, 0x1ff, v9, v8
	v_lshlrev_b32_e32 v17, v17, v20
	s_wait_alu 0xfffd
	v_cndmask_b32_e64 v5, 0, 1, vcc_lo
	v_cmp_ne_u32_e32 vcc_lo, 0, v18
	v_lshrrev_b32_e32 v24, 8, v9
	v_bfe_u32 v25, v9, 20, 11
	s_delay_alu instid0(VALU_DEP_4)
	v_and_or_b32 v5, 0xffe, v21, v5
	s_wait_alu 0xfffd
	v_cndmask_b32_e64 v18, 0, 1, vcc_lo
	v_cmp_ne_u32_e32 vcc_lo, v17, v13
	v_sub_nc_u32_e32 v21, 0x3f1, v22
	v_add_nc_u32_e32 v17, 0xfffffc10, v23
	v_or_b32_e32 v23, 0x1000, v5
	v_lshl_or_b32 v18, v18, 9, 0x7c00
	s_wait_alu 0xfffd
	v_cndmask_b32_e64 v13, 0, 1, vcc_lo
	v_cmp_gt_i32_e32 vcc_lo, 31, v15
	v_med3_i32 v21, v21, 0, 13
	s_delay_alu instid0(VALU_DEP_3)
	v_or_b32_e32 v13, v20, v13
	s_wait_alu 0xfffd
	v_cndmask_b32_e32 v19, 0x7c00, v19, vcc_lo
	v_cmp_ne_u32_e32 vcc_lo, 0, v8
	v_lshl_or_b32 v20, v17, 12, v3
	v_lshrrev_b32_e32 v26, v21, v23
	s_wait_alu 0xfffd
	v_cndmask_b32_e64 v8, 0, 1, vcc_lo
	v_cmp_gt_i32_e32 vcc_lo, 1, v17
	s_delay_alu instid0(VALU_DEP_2)
	v_and_or_b32 v8, 0xffe, v24, v8
	v_sub_nc_u32_e32 v24, 0x3f1, v25
	s_wait_alu 0xfffd
	v_dual_cndmask_b32 v13, v20, v13 :: v_dual_lshlrev_b32 v20, v21, v26
	v_cmp_eq_u32_e32 vcc_lo, 0x40f, v15
	v_or_b32_e32 v21, 0x1000, v8
	v_med3_i32 v24, v24, 0, 13
	s_delay_alu instid0(VALU_DEP_4)
	v_and_b32_e32 v27, 7, v13
	v_lshrrev_b32_e32 v13, 2, v13
	s_wait_alu 0xfffd
	v_cndmask_b32_e32 v15, v19, v18, vcc_lo
	v_cmp_ne_u32_e32 vcc_lo, v20, v23
	v_add_nc_u32_e32 v19, 0xfffffc10, v22
	v_lshrrev_b32_e32 v20, v24, v21
	v_cmp_eq_u32_e64 s0, 3, v27
	v_and_or_b32 v7, 0x8000, v7, v15
	s_wait_alu 0xfffd
	v_cndmask_b32_e64 v18, 0, 1, vcc_lo
	v_lshl_or_b32 v22, v19, 12, v5
	v_lshlrev_b32_e32 v23, v24, v20
	v_cmp_gt_i32_e64 s1, 1, v19
	v_cmp_lt_i32_e32 vcc_lo, 5, v27
	v_or_b32_e32 v18, v26, v18
	v_and_b32_e32 v7, 0xffff, v7
	s_or_b32 vcc_lo, s0, vcc_lo
	s_delay_alu instid0(VALU_DEP_2)
	v_cndmask_b32_e64 v18, v22, v18, s1
	v_cmp_ne_u32_e64 s1, v23, v21
	v_add_nc_u32_e32 v22, 0xfffffc10, v25
	s_wait_alu 0xfffe
	v_add_co_ci_u32_e32 v13, vcc_lo, 0, v13, vcc_lo
	v_and_b32_e32 v23, 7, v18
	s_wait_alu 0xf1ff
	v_cndmask_b32_e64 v21, 0, 1, s1
	v_cmp_ne_u32_e32 vcc_lo, 0, v3
	v_cmp_gt_i32_e64 s0, 1, v22
	v_lshrrev_b32_e32 v18, 2, v18
	v_cmp_gt_i32_e64 s1, 31, v17
	v_or_b32_e32 v20, v20, v21
	v_lshl_or_b32 v21, v22, 12, v8
	s_wait_alu 0xfffd
	v_cndmask_b32_e64 v3, 0, 1, vcc_lo
	v_cmp_lt_i32_e32 vcc_lo, 5, v23
	s_wait_alu 0xf1ff
	v_cndmask_b32_e64 v13, 0x7c00, v13, s1
	v_cmp_eq_u32_e64 s1, 0x40f, v17
	v_cndmask_b32_e64 v15, v21, v20, s0
	v_cmp_eq_u32_e64 s0, 3, v23
	v_lshl_or_b32 v3, v3, 9, 0x7c00
	s_delay_alu instid0(VALU_DEP_3) | instskip(NEXT) | instid1(VALU_DEP_3)
	v_and_b32_e32 v20, 7, v15
	s_or_b32 vcc_lo, s0, vcc_lo
	s_delay_alu instid0(VALU_DEP_2)
	v_cndmask_b32_e64 v3, v13, v3, s1
	s_wait_alu 0xfffe
	v_add_co_ci_u32_e32 v18, vcc_lo, 0, v18, vcc_lo
	v_cmp_ne_u32_e32 vcc_lo, 0, v5
	v_cmp_eq_u32_e64 s0, 3, v20
	v_lshrrev_b32_e32 v13, 2, v15
	v_cmp_gt_i32_e64 s1, 31, v19
	s_wait_alu 0xfffd
	v_cndmask_b32_e64 v5, 0, 1, vcc_lo
	v_cmp_lt_i32_e32 vcc_lo, 5, v20
	s_wait_alu 0xf1ff
	v_cndmask_b32_e64 v15, 0x7c00, v18, s1
	s_delay_alu instid0(VALU_DEP_3)
	v_lshl_or_b32 v5, v5, 9, 0x7c00
	s_or_b32 vcc_lo, s0, vcc_lo
	s_wait_alu 0xfffe
	v_add_co_ci_u32_e32 v13, vcc_lo, 0, v13, vcc_lo
	v_cmp_ne_u32_e32 vcc_lo, 0, v8
	s_wait_alu 0xfffd
	v_cndmask_b32_e64 v8, 0, 1, vcc_lo
	v_cmp_eq_u32_e32 vcc_lo, 0x40f, v19
	s_delay_alu instid0(VALU_DEP_2) | instskip(SKIP_4) | instid1(VALU_DEP_3)
	v_lshl_or_b32 v8, v8, 9, 0x7c00
	s_wait_alu 0xfffd
	v_cndmask_b32_e32 v5, v15, v5, vcc_lo
	v_cmp_gt_i32_e32 vcc_lo, 31, v22
	v_and_or_b32 v15, 0x8000, v4, v3
	v_and_or_b32 v5, 0x8000, v6, v5
	s_wait_alu 0xfffd
	v_cndmask_b32_e32 v13, 0x7c00, v13, vcc_lo
	v_cmp_eq_u32_e32 vcc_lo, 0x40f, v22
	s_wait_alu 0xfffd
	s_delay_alu instid0(VALU_DEP_2)
	v_cndmask_b32_e32 v6, v13, v8, vcc_lo
	v_lshrrev_b32_e32 v8, 16, v9
	v_add_co_u32 v3, vcc_lo, v10, s26
	s_wait_alu 0xfffd
	v_add_co_ci_u32_e32 v4, vcc_lo, s27, v11, vcc_lo
	v_lshl_or_b32 v9, v15, 16, v7
	v_and_or_b32 v7, 0x8000, v8, v6
	v_and_b32_e32 v8, 0xffff, v5
	v_add_co_u32 v5, vcc_lo, v3, s26
	s_wait_alu 0xfffd
	v_add_co_ci_u32_e32 v6, vcc_lo, s27, v4, vcc_lo
	s_delay_alu instid0(VALU_DEP_3) | instskip(NEXT) | instid1(VALU_DEP_3)
	v_lshl_or_b32 v13, v7, 16, v8
	v_add_co_u32 v7, vcc_lo, v5, s26
	s_wait_alu 0xfffd
	s_delay_alu instid0(VALU_DEP_3)
	v_add_co_ci_u32_e32 v8, vcc_lo, s27, v6, vcc_lo
	global_store_b32 v[0:1], v2, off
	global_store_b32 v[10:11], v14, off
	;; [unrolled: 1-line block ×5, first 2 shown]
.LBB0_2:
	s_nop 0
	s_sendmsg sendmsg(MSG_DEALLOC_VGPRS)
	s_endpgm
	.section	.rodata,"a",@progbits
	.p2align	6, 0x0
	.amdhsa_kernel bluestein_single_back_len3645_dim1_half_op_CI_CI
		.amdhsa_group_segment_fixed_size 14580
		.amdhsa_private_segment_fixed_size 0
		.amdhsa_kernarg_size 104
		.amdhsa_user_sgpr_count 2
		.amdhsa_user_sgpr_dispatch_ptr 0
		.amdhsa_user_sgpr_queue_ptr 0
		.amdhsa_user_sgpr_kernarg_segment_ptr 1
		.amdhsa_user_sgpr_dispatch_id 0
		.amdhsa_user_sgpr_private_segment_size 0
		.amdhsa_wavefront_size32 1
		.amdhsa_uses_dynamic_stack 0
		.amdhsa_enable_private_segment 0
		.amdhsa_system_sgpr_workgroup_id_x 1
		.amdhsa_system_sgpr_workgroup_id_y 0
		.amdhsa_system_sgpr_workgroup_id_z 0
		.amdhsa_system_sgpr_workgroup_info 0
		.amdhsa_system_vgpr_workitem_id 0
		.amdhsa_next_free_vgpr 222
		.amdhsa_next_free_sgpr 30
		.amdhsa_reserve_vcc 1
		.amdhsa_float_round_mode_32 0
		.amdhsa_float_round_mode_16_64 0
		.amdhsa_float_denorm_mode_32 3
		.amdhsa_float_denorm_mode_16_64 3
		.amdhsa_fp16_overflow 0
		.amdhsa_workgroup_processor_mode 1
		.amdhsa_memory_ordered 1
		.amdhsa_forward_progress 0
		.amdhsa_round_robin_scheduling 0
		.amdhsa_exception_fp_ieee_invalid_op 0
		.amdhsa_exception_fp_denorm_src 0
		.amdhsa_exception_fp_ieee_div_zero 0
		.amdhsa_exception_fp_ieee_overflow 0
		.amdhsa_exception_fp_ieee_underflow 0
		.amdhsa_exception_fp_ieee_inexact 0
		.amdhsa_exception_int_div_zero 0
	.end_amdhsa_kernel
	.text
.Lfunc_end0:
	.size	bluestein_single_back_len3645_dim1_half_op_CI_CI, .Lfunc_end0-bluestein_single_back_len3645_dim1_half_op_CI_CI
                                        ; -- End function
	.section	.AMDGPU.csdata,"",@progbits
; Kernel info:
; codeLenInByte = 31896
; NumSgprs: 32
; NumVgprs: 222
; ScratchSize: 0
; MemoryBound: 0
; FloatMode: 240
; IeeeMode: 1
; LDSByteSize: 14580 bytes/workgroup (compile time only)
; SGPRBlocks: 3
; VGPRBlocks: 27
; NumSGPRsForWavesPerEU: 32
; NumVGPRsForWavesPerEU: 222
; Occupancy: 6
; WaveLimiterHint : 1
; COMPUTE_PGM_RSRC2:SCRATCH_EN: 0
; COMPUTE_PGM_RSRC2:USER_SGPR: 2
; COMPUTE_PGM_RSRC2:TRAP_HANDLER: 0
; COMPUTE_PGM_RSRC2:TGID_X_EN: 1
; COMPUTE_PGM_RSRC2:TGID_Y_EN: 0
; COMPUTE_PGM_RSRC2:TGID_Z_EN: 0
; COMPUTE_PGM_RSRC2:TIDIG_COMP_CNT: 0
	.text
	.p2alignl 7, 3214868480
	.fill 96, 4, 3214868480
	.type	__hip_cuid_a1486c3b74630a5e,@object ; @__hip_cuid_a1486c3b74630a5e
	.section	.bss,"aw",@nobits
	.globl	__hip_cuid_a1486c3b74630a5e
__hip_cuid_a1486c3b74630a5e:
	.byte	0                               ; 0x0
	.size	__hip_cuid_a1486c3b74630a5e, 1

	.ident	"AMD clang version 19.0.0git (https://github.com/RadeonOpenCompute/llvm-project roc-6.4.0 25133 c7fe45cf4b819c5991fe208aaa96edf142730f1d)"
	.section	".note.GNU-stack","",@progbits
	.addrsig
	.addrsig_sym __hip_cuid_a1486c3b74630a5e
	.amdgpu_metadata
---
amdhsa.kernels:
  - .args:
      - .actual_access:  read_only
        .address_space:  global
        .offset:         0
        .size:           8
        .value_kind:     global_buffer
      - .actual_access:  read_only
        .address_space:  global
        .offset:         8
        .size:           8
        .value_kind:     global_buffer
      - .actual_access:  read_only
        .address_space:  global
        .offset:         16
        .size:           8
        .value_kind:     global_buffer
      - .actual_access:  read_only
        .address_space:  global
        .offset:         24
        .size:           8
        .value_kind:     global_buffer
      - .actual_access:  read_only
        .address_space:  global
        .offset:         32
        .size:           8
        .value_kind:     global_buffer
      - .offset:         40
        .size:           8
        .value_kind:     by_value
      - .address_space:  global
        .offset:         48
        .size:           8
        .value_kind:     global_buffer
      - .address_space:  global
        .offset:         56
        .size:           8
        .value_kind:     global_buffer
      - .address_space:  global
        .offset:         64
        .size:           8
        .value_kind:     global_buffer
      - .address_space:  global
        .offset:         72
        .size:           8
        .value_kind:     global_buffer
      - .offset:         80
        .size:           4
        .value_kind:     by_value
      - .address_space:  global
        .offset:         88
        .size:           8
        .value_kind:     global_buffer
      - .address_space:  global
        .offset:         96
        .size:           8
        .value_kind:     global_buffer
    .group_segment_fixed_size: 14580
    .kernarg_segment_align: 8
    .kernarg_segment_size: 104
    .language:       OpenCL C
    .language_version:
      - 2
      - 0
    .max_flat_workgroup_size: 243
    .name:           bluestein_single_back_len3645_dim1_half_op_CI_CI
    .private_segment_fixed_size: 0
    .sgpr_count:     32
    .sgpr_spill_count: 0
    .symbol:         bluestein_single_back_len3645_dim1_half_op_CI_CI.kd
    .uniform_work_group_size: 1
    .uses_dynamic_stack: false
    .vgpr_count:     222
    .vgpr_spill_count: 0
    .wavefront_size: 32
    .workgroup_processor_mode: 1
amdhsa.target:   amdgcn-amd-amdhsa--gfx1201
amdhsa.version:
  - 1
  - 2
...

	.end_amdgpu_metadata
